;; amdgpu-corpus repo=ROCm/aiter kind=compiled arch=gfx90a opt=O3
	.text
	.amdgcn_target "amdgcn-amd-amdhsa--gfx90a"
	.amdhsa_code_object_version 6
	.section	.text._ZN7ck_tileL11flush_cacheEv,"axG",@progbits,_ZN7ck_tileL11flush_cacheEv,comdat
	.globl	_ZN7ck_tileL11flush_cacheEv     ; -- Begin function _ZN7ck_tileL11flush_cacheEv
	.p2align	8
	.type	_ZN7ck_tileL11flush_cacheEv,@function
_ZN7ck_tileL11flush_cacheEv:            ; @_ZN7ck_tileL11flush_cacheEv
; %bb.0:
	;;#ASMSTART
	s_icache_inv 
	s_nop 0 
	s_nop 0 
	;; [unrolled: 1-line block ×16, first 2 shown]
	
	;;#ASMEND
	s_endpgm
	.section	.rodata,"a",@progbits
	.p2align	6, 0x0
	.amdhsa_kernel _ZN7ck_tileL11flush_cacheEv
		.amdhsa_group_segment_fixed_size 0
		.amdhsa_private_segment_fixed_size 0
		.amdhsa_kernarg_size 0
		.amdhsa_user_sgpr_count 4
		.amdhsa_user_sgpr_private_segment_buffer 1
		.amdhsa_user_sgpr_dispatch_ptr 0
		.amdhsa_user_sgpr_queue_ptr 0
		.amdhsa_user_sgpr_kernarg_segment_ptr 0
		.amdhsa_user_sgpr_dispatch_id 0
		.amdhsa_user_sgpr_flat_scratch_init 0
		.amdhsa_user_sgpr_kernarg_preload_length 0
		.amdhsa_user_sgpr_kernarg_preload_offset 0
		.amdhsa_user_sgpr_private_segment_size 0
		.amdhsa_uses_dynamic_stack 0
		.amdhsa_system_sgpr_private_segment_wavefront_offset 0
		.amdhsa_system_sgpr_workgroup_id_x 1
		.amdhsa_system_sgpr_workgroup_id_y 0
		.amdhsa_system_sgpr_workgroup_id_z 0
		.amdhsa_system_sgpr_workgroup_info 0
		.amdhsa_system_vgpr_workitem_id 0
		.amdhsa_next_free_vgpr 1
		.amdhsa_next_free_sgpr 0
		.amdhsa_accum_offset 4
		.amdhsa_reserve_vcc 0
		.amdhsa_reserve_flat_scratch 0
		.amdhsa_float_round_mode_32 0
		.amdhsa_float_round_mode_16_64 0
		.amdhsa_float_denorm_mode_32 3
		.amdhsa_float_denorm_mode_16_64 3
		.amdhsa_dx10_clamp 1
		.amdhsa_ieee_mode 1
		.amdhsa_fp16_overflow 0
		.amdhsa_tg_split 0
		.amdhsa_exception_fp_ieee_invalid_op 0
		.amdhsa_exception_fp_denorm_src 0
		.amdhsa_exception_fp_ieee_div_zero 0
		.amdhsa_exception_fp_ieee_overflow 0
		.amdhsa_exception_fp_ieee_underflow 0
		.amdhsa_exception_fp_ieee_inexact 0
		.amdhsa_exception_int_div_zero 0
	.end_amdhsa_kernel
	.section	.text._ZN7ck_tileL11flush_cacheEv,"axG",@progbits,_ZN7ck_tileL11flush_cacheEv,comdat
.Lfunc_end0:
	.size	_ZN7ck_tileL11flush_cacheEv, .Lfunc_end0-_ZN7ck_tileL11flush_cacheEv
                                        ; -- End function
	.section	.AMDGPU.csdata,"",@progbits
; Kernel info:
; codeLenInByte = 140
; NumSgprs: 4
; NumVgprs: 0
; NumAgprs: 0
; TotalNumVgprs: 0
; ScratchSize: 0
; MemoryBound: 0
; FloatMode: 240
; IeeeMode: 1
; LDSByteSize: 0 bytes/workgroup (compile time only)
; SGPRBlocks: 0
; VGPRBlocks: 0
; NumSGPRsForWavesPerEU: 4
; NumVGPRsForWavesPerEU: 1
; AccumOffset: 4
; Occupancy: 8
; WaveLimiterHint : 0
; COMPUTE_PGM_RSRC2:SCRATCH_EN: 0
; COMPUTE_PGM_RSRC2:USER_SGPR: 4
; COMPUTE_PGM_RSRC2:TRAP_HANDLER: 0
; COMPUTE_PGM_RSRC2:TGID_X_EN: 1
; COMPUTE_PGM_RSRC2:TGID_Y_EN: 0
; COMPUTE_PGM_RSRC2:TGID_Z_EN: 0
; COMPUTE_PGM_RSRC2:TIDIG_COMP_CNT: 0
; COMPUTE_PGM_RSRC3_GFX90A:ACCUM_OFFSET: 0
; COMPUTE_PGM_RSRC3_GFX90A:TG_SPLIT: 0
	.section	.text._Z21moe_fused_gate_kernelItLi32ELi256ELi8ELi1EEvPvS0_PfPilllldi,"axG",@progbits,_Z21moe_fused_gate_kernelItLi32ELi256ELi8ELi1EEvPvS0_PfPilllldi,comdat
	.protected	_Z21moe_fused_gate_kernelItLi32ELi256ELi8ELi1EEvPvS0_PfPilllldi ; -- Begin function _Z21moe_fused_gate_kernelItLi32ELi256ELi8ELi1EEvPvS0_PfPilllldi
	.globl	_Z21moe_fused_gate_kernelItLi32ELi256ELi8ELi1EEvPvS0_PfPilllldi
	.p2align	8
	.type	_Z21moe_fused_gate_kernelItLi32ELi256ELi8ELi1EEvPvS0_PfPilllldi,@function
_Z21moe_fused_gate_kernelItLi32ELi256ELi8ELi1EEvPvS0_PfPilllldi: ; @_Z21moe_fused_gate_kernelItLi32ELi256ELi8ELi1EEvPvS0_PfPilllldi
; %bb.0:
	s_load_dwordx16 s[64:79], s[4:5], 0x0
	v_and_b32_e32 v1, 0x3ff, v0
	v_bfe_u32 v0, v0, 10, 10
	v_add_u32_e32 v0, s6, v0
	v_lshrrev_b32_e32 v66, 3, v1
	v_mov_b32_e32 v69, 0
	v_lshl_add_u32 v32, v0, 3, v66
	v_mov_b32_e32 v33, v69
	s_waitcnt lgkmcnt(0)
	v_cmp_gt_i64_e32 vcc, s[72:73], v[32:33]
	s_and_saveexec_b64 s[0:1], vcc
	s_cbranch_execz .LBB1_224
; %bb.1:
	v_lshlrev_b64 v[2:3], 9, v[32:33]
	v_mov_b32_e32 v0, s65
	v_add_co_u32_e32 v2, vcc, s64, v2
	v_and_b32_e32 v68, 7, v1
	v_addc_co_u32_e32 v0, vcc, v0, v3, vcc
	v_lshlrev_b32_e32 v36, 6, v68
	v_add_co_u32_e32 v34, vcc, v2, v36
	v_addc_co_u32_e32 v35, vcc, 0, v0, vcc
	global_load_dwordx4 v[16:19], v[34:35], off offset:48
	global_load_dwordx4 v[20:23], v[34:35], off offset:32
	;; [unrolled: 1-line block ×3, first 2 shown]
	global_load_dwordx4 v[28:31], v[34:35], off
	global_load_dwordx4 v[0:3], v36, s[66:67] offset:48
	global_load_dwordx4 v[4:7], v36, s[66:67] offset:32
	;; [unrolled: 1-line block ×3, first 2 shown]
	global_load_dwordx4 v[12:15], v36, s[66:67]
	s_waitcnt vmcnt(4)
	v_lshlrev_b32_e32 v34, 16, v28
	v_cmp_o_f32_e32 vcc, v34, v34
	s_and_saveexec_b64 s[0:1], vcc
	s_cbranch_execz .LBB1_3
; %bb.2:
	v_mul_f32_e32 v35, 0xbfb8aa3b, v34
	s_mov_b32 s2, 0xbfb8aa3b
	v_rndne_f32_e32 v36, v35
	v_sub_f32_e32 v37, v35, v36
	v_fma_f32 v35, v34, s2, -v35
	v_fmac_f32_e32 v35, 0xb2a5705f, v34
	v_add_f32_e32 v35, v37, v35
	v_exp_f32_e32 v35, v35
	v_cvt_i32_f32_e32 v36, v36
	s_mov_b32 s2, 0x42ce8ed0
	v_cmp_nlt_f32_e32 vcc, s2, v34
	s_mov_b32 s2, 0xc2b17218
	v_ldexp_f32 v35, v35, v36
	v_cndmask_b32_e32 v35, 0, v35, vcc
	v_mov_b32_e32 v36, 0x7f800000
	v_cmp_ngt_f32_e32 vcc, s2, v34
	v_cndmask_b32_e32 v34, v36, v35, vcc
	v_add_f32_e32 v34, 1.0, v34
	v_div_scale_f32 v35, s[2:3], v34, v34, 1.0
	v_rcp_f32_e32 v36, v35
	v_fma_f32 v37, -v35, v36, 1.0
	v_fmac_f32_e32 v36, v37, v36
	v_div_scale_f32 v37, vcc, 1.0, v34, 1.0
	v_mul_f32_e32 v38, v37, v36
	v_fma_f32 v39, -v35, v38, v37
	v_fmac_f32_e32 v38, v39, v36
	v_fma_f32 v35, -v35, v38, v37
	v_div_fmas_f32 v35, v35, v36, v38
	v_div_fixup_f32 v69, v35, v34, 1.0
.LBB1_3:
	s_or_b64 exec, exec, s[0:1]
	v_and_b32_e32 v28, 0xffff0000, v28
	v_cmp_o_f32_e32 vcc, v28, v28
	v_mov_b32_e32 v35, 0
	v_mov_b32_e32 v34, 0
	s_and_saveexec_b64 s[0:1], vcc
	s_cbranch_execz .LBB1_5
; %bb.4:
	v_mul_f32_e32 v34, 0xbfb8aa3b, v28
	s_mov_b32 s2, 0xbfb8aa3b
	v_rndne_f32_e32 v36, v34
	v_sub_f32_e32 v37, v34, v36
	v_fma_f32 v34, v28, s2, -v34
	v_fmac_f32_e32 v34, 0xb2a5705f, v28
	v_add_f32_e32 v34, v37, v34
	v_exp_f32_e32 v34, v34
	v_cvt_i32_f32_e32 v36, v36
	s_mov_b32 s2, 0x42ce8ed0
	v_cmp_nlt_f32_e32 vcc, s2, v28
	s_mov_b32 s2, 0xc2b17218
	v_ldexp_f32 v34, v34, v36
	v_cndmask_b32_e32 v34, 0, v34, vcc
	v_mov_b32_e32 v36, 0x7f800000
	v_cmp_ngt_f32_e32 vcc, s2, v28
	v_cndmask_b32_e32 v28, v36, v34, vcc
	v_add_f32_e32 v28, 1.0, v28
	v_div_scale_f32 v34, s[2:3], v28, v28, 1.0
	v_rcp_f32_e32 v36, v34
	v_fma_f32 v37, -v34, v36, 1.0
	v_fmac_f32_e32 v36, v37, v36
	v_div_scale_f32 v37, vcc, 1.0, v28, 1.0
	v_mul_f32_e32 v38, v37, v36
	v_fma_f32 v39, -v34, v38, v37
	v_fmac_f32_e32 v38, v39, v36
	v_fma_f32 v34, -v34, v38, v37
	v_div_fmas_f32 v34, v34, v36, v38
	v_div_fixup_f32 v34, v34, v28, 1.0
.LBB1_5:
	s_or_b64 exec, exec, s[0:1]
	v_lshlrev_b32_e32 v28, 16, v29
	v_cmp_o_f32_e32 vcc, v28, v28
	s_and_saveexec_b64 s[0:1], vcc
	s_cbranch_execz .LBB1_7
; %bb.6:
	v_mul_f32_e32 v35, 0xbfb8aa3b, v28
	s_mov_b32 s2, 0xbfb8aa3b
	v_rndne_f32_e32 v36, v35
	v_sub_f32_e32 v37, v35, v36
	v_fma_f32 v35, v28, s2, -v35
	v_fmac_f32_e32 v35, 0xb2a5705f, v28
	v_add_f32_e32 v35, v37, v35
	v_exp_f32_e32 v35, v35
	v_cvt_i32_f32_e32 v36, v36
	s_mov_b32 s2, 0x42ce8ed0
	v_cmp_nlt_f32_e32 vcc, s2, v28
	s_mov_b32 s2, 0xc2b17218
	v_ldexp_f32 v35, v35, v36
	v_cndmask_b32_e32 v35, 0, v35, vcc
	v_mov_b32_e32 v36, 0x7f800000
	v_cmp_ngt_f32_e32 vcc, s2, v28
	v_cndmask_b32_e32 v28, v36, v35, vcc
	v_add_f32_e32 v28, 1.0, v28
	v_div_scale_f32 v35, s[2:3], v28, v28, 1.0
	v_rcp_f32_e32 v36, v35
	v_fma_f32 v37, -v35, v36, 1.0
	v_fmac_f32_e32 v36, v37, v36
	v_div_scale_f32 v37, vcc, 1.0, v28, 1.0
	v_mul_f32_e32 v38, v37, v36
	v_fma_f32 v39, -v35, v38, v37
	v_fmac_f32_e32 v38, v39, v36
	v_fma_f32 v35, -v35, v38, v37
	v_div_fmas_f32 v35, v35, v36, v38
	v_div_fixup_f32 v35, v35, v28, 1.0
.LBB1_7:
	s_or_b64 exec, exec, s[0:1]
	v_and_b32_e32 v36, 0xffff0000, v29
	v_cmp_o_f32_e32 vcc, v36, v36
	v_mov_b32_e32 v29, 0
	v_mov_b32_e32 v28, 0
	s_and_saveexec_b64 s[0:1], vcc
	s_cbranch_execz .LBB1_9
; %bb.8:
	v_mul_f32_e32 v28, 0xbfb8aa3b, v36
	s_mov_b32 s2, 0xbfb8aa3b
	v_rndne_f32_e32 v37, v28
	v_sub_f32_e32 v38, v28, v37
	v_fma_f32 v28, v36, s2, -v28
	v_fmac_f32_e32 v28, 0xb2a5705f, v36
	v_add_f32_e32 v28, v38, v28
	v_exp_f32_e32 v28, v28
	v_cvt_i32_f32_e32 v37, v37
	s_mov_b32 s2, 0x42ce8ed0
	v_cmp_nlt_f32_e32 vcc, s2, v36
	s_mov_b32 s2, 0xc2b17218
	v_ldexp_f32 v28, v28, v37
	v_cndmask_b32_e32 v28, 0, v28, vcc
	v_mov_b32_e32 v37, 0x7f800000
	v_cmp_ngt_f32_e32 vcc, s2, v36
	v_cndmask_b32_e32 v28, v37, v28, vcc
	v_add_f32_e32 v28, 1.0, v28
	v_div_scale_f32 v36, s[2:3], v28, v28, 1.0
	v_rcp_f32_e32 v37, v36
	v_fma_f32 v38, -v36, v37, 1.0
	v_fmac_f32_e32 v37, v38, v37
	v_div_scale_f32 v38, vcc, 1.0, v28, 1.0
	v_mul_f32_e32 v39, v38, v37
	v_fma_f32 v40, -v36, v39, v38
	v_fmac_f32_e32 v39, v40, v37
	v_fma_f32 v36, -v36, v39, v38
	v_div_fmas_f32 v36, v36, v37, v39
	v_div_fixup_f32 v28, v36, v28, 1.0
.LBB1_9:
	s_or_b64 exec, exec, s[0:1]
	v_lshlrev_b32_e32 v36, 16, v30
	v_cmp_o_f32_e32 vcc, v36, v36
	s_and_saveexec_b64 s[0:1], vcc
	s_cbranch_execz .LBB1_11
; %bb.10:
	v_mul_f32_e32 v29, 0xbfb8aa3b, v36
	s_mov_b32 s2, 0xbfb8aa3b
	v_rndne_f32_e32 v37, v29
	v_sub_f32_e32 v38, v29, v37
	v_fma_f32 v29, v36, s2, -v29
	v_fmac_f32_e32 v29, 0xb2a5705f, v36
	v_add_f32_e32 v29, v38, v29
	v_exp_f32_e32 v29, v29
	v_cvt_i32_f32_e32 v37, v37
	s_mov_b32 s2, 0x42ce8ed0
	v_cmp_nlt_f32_e32 vcc, s2, v36
	s_mov_b32 s2, 0xc2b17218
	v_ldexp_f32 v29, v29, v37
	v_cndmask_b32_e32 v29, 0, v29, vcc
	v_mov_b32_e32 v37, 0x7f800000
	v_cmp_ngt_f32_e32 vcc, s2, v36
	v_cndmask_b32_e32 v29, v37, v29, vcc
	v_add_f32_e32 v29, 1.0, v29
	v_div_scale_f32 v36, s[2:3], v29, v29, 1.0
	v_rcp_f32_e32 v37, v36
	v_fma_f32 v38, -v36, v37, 1.0
	v_fmac_f32_e32 v37, v38, v37
	v_div_scale_f32 v38, vcc, 1.0, v29, 1.0
	v_mul_f32_e32 v39, v38, v37
	v_fma_f32 v40, -v36, v39, v38
	v_fmac_f32_e32 v39, v40, v37
	v_fma_f32 v36, -v36, v39, v38
	v_div_fmas_f32 v36, v36, v37, v39
	v_div_fixup_f32 v29, v36, v29, 1.0
.LBB1_11:
	s_or_b64 exec, exec, s[0:1]
	v_and_b32_e32 v30, 0xffff0000, v30
	v_cmp_o_f32_e32 vcc, v30, v30
	v_mov_b32_e32 v37, 0
	v_mov_b32_e32 v36, 0
	s_and_saveexec_b64 s[0:1], vcc
	s_cbranch_execz .LBB1_13
; %bb.12:
	v_mul_f32_e32 v36, 0xbfb8aa3b, v30
	s_mov_b32 s2, 0xbfb8aa3b
	v_rndne_f32_e32 v38, v36
	v_sub_f32_e32 v39, v36, v38
	v_fma_f32 v36, v30, s2, -v36
	v_fmac_f32_e32 v36, 0xb2a5705f, v30
	v_add_f32_e32 v36, v39, v36
	v_exp_f32_e32 v36, v36
	v_cvt_i32_f32_e32 v38, v38
	s_mov_b32 s2, 0x42ce8ed0
	v_cmp_nlt_f32_e32 vcc, s2, v30
	s_mov_b32 s2, 0xc2b17218
	v_ldexp_f32 v36, v36, v38
	v_cndmask_b32_e32 v36, 0, v36, vcc
	v_mov_b32_e32 v38, 0x7f800000
	v_cmp_ngt_f32_e32 vcc, s2, v30
	v_cndmask_b32_e32 v30, v38, v36, vcc
	v_add_f32_e32 v30, 1.0, v30
	v_div_scale_f32 v36, s[2:3], v30, v30, 1.0
	v_rcp_f32_e32 v38, v36
	v_fma_f32 v39, -v36, v38, 1.0
	v_fmac_f32_e32 v38, v39, v38
	v_div_scale_f32 v39, vcc, 1.0, v30, 1.0
	v_mul_f32_e32 v40, v39, v38
	v_fma_f32 v41, -v36, v40, v39
	v_fmac_f32_e32 v40, v41, v38
	v_fma_f32 v36, -v36, v40, v39
	v_div_fmas_f32 v36, v36, v38, v40
	v_div_fixup_f32 v36, v36, v30, 1.0
.LBB1_13:
	s_or_b64 exec, exec, s[0:1]
	v_lshlrev_b32_e32 v30, 16, v31
	v_cmp_o_f32_e32 vcc, v30, v30
	s_and_saveexec_b64 s[0:1], vcc
	s_cbranch_execz .LBB1_15
; %bb.14:
	v_mul_f32_e32 v37, 0xbfb8aa3b, v30
	s_mov_b32 s2, 0xbfb8aa3b
	v_rndne_f32_e32 v38, v37
	v_sub_f32_e32 v39, v37, v38
	v_fma_f32 v37, v30, s2, -v37
	v_fmac_f32_e32 v37, 0xb2a5705f, v30
	v_add_f32_e32 v37, v39, v37
	v_exp_f32_e32 v37, v37
	v_cvt_i32_f32_e32 v38, v38
	s_mov_b32 s2, 0x42ce8ed0
	v_cmp_nlt_f32_e32 vcc, s2, v30
	s_mov_b32 s2, 0xc2b17218
	v_ldexp_f32 v37, v37, v38
	v_cndmask_b32_e32 v37, 0, v37, vcc
	v_mov_b32_e32 v38, 0x7f800000
	v_cmp_ngt_f32_e32 vcc, s2, v30
	v_cndmask_b32_e32 v30, v38, v37, vcc
	v_add_f32_e32 v30, 1.0, v30
	v_div_scale_f32 v37, s[2:3], v30, v30, 1.0
	v_rcp_f32_e32 v38, v37
	v_fma_f32 v39, -v37, v38, 1.0
	v_fmac_f32_e32 v38, v39, v38
	v_div_scale_f32 v39, vcc, 1.0, v30, 1.0
	v_mul_f32_e32 v40, v39, v38
	v_fma_f32 v41, -v37, v40, v39
	v_fmac_f32_e32 v40, v41, v38
	v_fma_f32 v37, -v37, v40, v39
	v_div_fmas_f32 v37, v37, v38, v40
	v_div_fixup_f32 v37, v37, v30, 1.0
.LBB1_15:
	s_or_b64 exec, exec, s[0:1]
	v_and_b32_e32 v38, 0xffff0000, v31
	v_cmp_o_f32_e32 vcc, v38, v38
	v_mov_b32_e32 v31, 0
	v_mov_b32_e32 v30, 0
	s_and_saveexec_b64 s[0:1], vcc
	s_cbranch_execz .LBB1_17
; %bb.16:
	v_mul_f32_e32 v30, 0xbfb8aa3b, v38
	s_mov_b32 s2, 0xbfb8aa3b
	v_rndne_f32_e32 v39, v30
	v_sub_f32_e32 v40, v30, v39
	v_fma_f32 v30, v38, s2, -v30
	v_fmac_f32_e32 v30, 0xb2a5705f, v38
	v_add_f32_e32 v30, v40, v30
	v_exp_f32_e32 v30, v30
	v_cvt_i32_f32_e32 v39, v39
	s_mov_b32 s2, 0x42ce8ed0
	v_cmp_nlt_f32_e32 vcc, s2, v38
	s_mov_b32 s2, 0xc2b17218
	v_ldexp_f32 v30, v30, v39
	v_cndmask_b32_e32 v30, 0, v30, vcc
	v_mov_b32_e32 v39, 0x7f800000
	v_cmp_ngt_f32_e32 vcc, s2, v38
	v_cndmask_b32_e32 v30, v39, v30, vcc
	v_add_f32_e32 v30, 1.0, v30
	v_div_scale_f32 v38, s[2:3], v30, v30, 1.0
	v_rcp_f32_e32 v39, v38
	v_fma_f32 v40, -v38, v39, 1.0
	v_fmac_f32_e32 v39, v40, v39
	v_div_scale_f32 v40, vcc, 1.0, v30, 1.0
	v_mul_f32_e32 v41, v40, v39
	v_fma_f32 v42, -v38, v41, v40
	v_fmac_f32_e32 v41, v42, v39
	v_fma_f32 v38, -v38, v41, v40
	v_div_fmas_f32 v38, v38, v39, v41
	v_div_fixup_f32 v30, v38, v30, 1.0
.LBB1_17:
	s_or_b64 exec, exec, s[0:1]
	v_lshlrev_b32_e32 v38, 16, v24
	v_cmp_o_f32_e32 vcc, v38, v38
	s_and_saveexec_b64 s[0:1], vcc
	s_cbranch_execz .LBB1_19
; %bb.18:
	v_mul_f32_e32 v31, 0xbfb8aa3b, v38
	s_mov_b32 s2, 0xbfb8aa3b
	v_rndne_f32_e32 v39, v31
	v_sub_f32_e32 v40, v31, v39
	v_fma_f32 v31, v38, s2, -v31
	v_fmac_f32_e32 v31, 0xb2a5705f, v38
	v_add_f32_e32 v31, v40, v31
	v_exp_f32_e32 v31, v31
	v_cvt_i32_f32_e32 v39, v39
	s_mov_b32 s2, 0x42ce8ed0
	v_cmp_nlt_f32_e32 vcc, s2, v38
	s_mov_b32 s2, 0xc2b17218
	v_ldexp_f32 v31, v31, v39
	v_cndmask_b32_e32 v31, 0, v31, vcc
	v_mov_b32_e32 v39, 0x7f800000
	v_cmp_ngt_f32_e32 vcc, s2, v38
	v_cndmask_b32_e32 v31, v39, v31, vcc
	v_add_f32_e32 v31, 1.0, v31
	v_div_scale_f32 v38, s[2:3], v31, v31, 1.0
	v_rcp_f32_e32 v39, v38
	v_fma_f32 v40, -v38, v39, 1.0
	v_fmac_f32_e32 v39, v40, v39
	v_div_scale_f32 v40, vcc, 1.0, v31, 1.0
	v_mul_f32_e32 v41, v40, v39
	v_fma_f32 v42, -v38, v41, v40
	v_fmac_f32_e32 v41, v42, v39
	v_fma_f32 v38, -v38, v41, v40
	v_div_fmas_f32 v38, v38, v39, v41
	v_div_fixup_f32 v31, v38, v31, 1.0
.LBB1_19:
	s_or_b64 exec, exec, s[0:1]
	v_and_b32_e32 v24, 0xffff0000, v24
	v_cmp_o_f32_e32 vcc, v24, v24
	v_mov_b32_e32 v39, 0
	v_mov_b32_e32 v38, 0
	s_and_saveexec_b64 s[0:1], vcc
	s_cbranch_execz .LBB1_21
; %bb.20:
	v_mul_f32_e32 v38, 0xbfb8aa3b, v24
	s_mov_b32 s2, 0xbfb8aa3b
	v_rndne_f32_e32 v40, v38
	v_sub_f32_e32 v41, v38, v40
	v_fma_f32 v38, v24, s2, -v38
	v_fmac_f32_e32 v38, 0xb2a5705f, v24
	v_add_f32_e32 v38, v41, v38
	v_exp_f32_e32 v38, v38
	v_cvt_i32_f32_e32 v40, v40
	s_mov_b32 s2, 0x42ce8ed0
	v_cmp_nlt_f32_e32 vcc, s2, v24
	s_mov_b32 s2, 0xc2b17218
	v_ldexp_f32 v38, v38, v40
	v_cndmask_b32_e32 v38, 0, v38, vcc
	v_mov_b32_e32 v40, 0x7f800000
	v_cmp_ngt_f32_e32 vcc, s2, v24
	v_cndmask_b32_e32 v24, v40, v38, vcc
	v_add_f32_e32 v24, 1.0, v24
	v_div_scale_f32 v38, s[2:3], v24, v24, 1.0
	v_rcp_f32_e32 v40, v38
	v_fma_f32 v41, -v38, v40, 1.0
	v_fmac_f32_e32 v40, v41, v40
	v_div_scale_f32 v41, vcc, 1.0, v24, 1.0
	v_mul_f32_e32 v42, v41, v40
	v_fma_f32 v43, -v38, v42, v41
	v_fmac_f32_e32 v42, v43, v40
	v_fma_f32 v38, -v38, v42, v41
	v_div_fmas_f32 v38, v38, v40, v42
	v_div_fixup_f32 v38, v38, v24, 1.0
.LBB1_21:
	s_or_b64 exec, exec, s[0:1]
	v_lshlrev_b32_e32 v24, 16, v25
	v_cmp_o_f32_e32 vcc, v24, v24
	s_and_saveexec_b64 s[0:1], vcc
	s_cbranch_execz .LBB1_23
; %bb.22:
	v_mul_f32_e32 v39, 0xbfb8aa3b, v24
	s_mov_b32 s2, 0xbfb8aa3b
	v_rndne_f32_e32 v40, v39
	v_sub_f32_e32 v41, v39, v40
	v_fma_f32 v39, v24, s2, -v39
	v_fmac_f32_e32 v39, 0xb2a5705f, v24
	v_add_f32_e32 v39, v41, v39
	v_exp_f32_e32 v39, v39
	v_cvt_i32_f32_e32 v40, v40
	s_mov_b32 s2, 0x42ce8ed0
	v_cmp_nlt_f32_e32 vcc, s2, v24
	s_mov_b32 s2, 0xc2b17218
	v_ldexp_f32 v39, v39, v40
	v_cndmask_b32_e32 v39, 0, v39, vcc
	v_mov_b32_e32 v40, 0x7f800000
	v_cmp_ngt_f32_e32 vcc, s2, v24
	v_cndmask_b32_e32 v24, v40, v39, vcc
	v_add_f32_e32 v24, 1.0, v24
	v_div_scale_f32 v39, s[2:3], v24, v24, 1.0
	v_rcp_f32_e32 v40, v39
	v_fma_f32 v41, -v39, v40, 1.0
	v_fmac_f32_e32 v40, v41, v40
	v_div_scale_f32 v41, vcc, 1.0, v24, 1.0
	v_mul_f32_e32 v42, v41, v40
	v_fma_f32 v43, -v39, v42, v41
	v_fmac_f32_e32 v42, v43, v40
	v_fma_f32 v39, -v39, v42, v41
	v_div_fmas_f32 v39, v39, v40, v42
	v_div_fixup_f32 v39, v39, v24, 1.0
.LBB1_23:
	s_or_b64 exec, exec, s[0:1]
	v_and_b32_e32 v40, 0xffff0000, v25
	v_cmp_o_f32_e32 vcc, v40, v40
	v_mov_b32_e32 v25, 0
	v_mov_b32_e32 v24, 0
	s_and_saveexec_b64 s[0:1], vcc
	s_cbranch_execz .LBB1_25
; %bb.24:
	v_mul_f32_e32 v24, 0xbfb8aa3b, v40
	s_mov_b32 s2, 0xbfb8aa3b
	v_rndne_f32_e32 v41, v24
	v_sub_f32_e32 v42, v24, v41
	v_fma_f32 v24, v40, s2, -v24
	v_fmac_f32_e32 v24, 0xb2a5705f, v40
	v_add_f32_e32 v24, v42, v24
	v_exp_f32_e32 v24, v24
	v_cvt_i32_f32_e32 v41, v41
	s_mov_b32 s2, 0x42ce8ed0
	v_cmp_nlt_f32_e32 vcc, s2, v40
	s_mov_b32 s2, 0xc2b17218
	v_ldexp_f32 v24, v24, v41
	v_cndmask_b32_e32 v24, 0, v24, vcc
	v_mov_b32_e32 v41, 0x7f800000
	v_cmp_ngt_f32_e32 vcc, s2, v40
	v_cndmask_b32_e32 v24, v41, v24, vcc
	v_add_f32_e32 v24, 1.0, v24
	v_div_scale_f32 v40, s[2:3], v24, v24, 1.0
	v_rcp_f32_e32 v41, v40
	v_fma_f32 v42, -v40, v41, 1.0
	v_fmac_f32_e32 v41, v42, v41
	v_div_scale_f32 v42, vcc, 1.0, v24, 1.0
	v_mul_f32_e32 v43, v42, v41
	v_fma_f32 v44, -v40, v43, v42
	v_fmac_f32_e32 v43, v44, v41
	v_fma_f32 v40, -v40, v43, v42
	v_div_fmas_f32 v40, v40, v41, v43
	v_div_fixup_f32 v24, v40, v24, 1.0
.LBB1_25:
	s_or_b64 exec, exec, s[0:1]
	v_lshlrev_b32_e32 v40, 16, v26
	v_cmp_o_f32_e32 vcc, v40, v40
	s_and_saveexec_b64 s[0:1], vcc
	s_cbranch_execz .LBB1_27
; %bb.26:
	v_mul_f32_e32 v25, 0xbfb8aa3b, v40
	s_mov_b32 s2, 0xbfb8aa3b
	v_rndne_f32_e32 v41, v25
	v_sub_f32_e32 v42, v25, v41
	v_fma_f32 v25, v40, s2, -v25
	v_fmac_f32_e32 v25, 0xb2a5705f, v40
	v_add_f32_e32 v25, v42, v25
	v_exp_f32_e32 v25, v25
	v_cvt_i32_f32_e32 v41, v41
	s_mov_b32 s2, 0x42ce8ed0
	v_cmp_nlt_f32_e32 vcc, s2, v40
	s_mov_b32 s2, 0xc2b17218
	v_ldexp_f32 v25, v25, v41
	v_cndmask_b32_e32 v25, 0, v25, vcc
	v_mov_b32_e32 v41, 0x7f800000
	v_cmp_ngt_f32_e32 vcc, s2, v40
	v_cndmask_b32_e32 v25, v41, v25, vcc
	v_add_f32_e32 v25, 1.0, v25
	v_div_scale_f32 v40, s[2:3], v25, v25, 1.0
	v_rcp_f32_e32 v41, v40
	v_fma_f32 v42, -v40, v41, 1.0
	v_fmac_f32_e32 v41, v42, v41
	v_div_scale_f32 v42, vcc, 1.0, v25, 1.0
	v_mul_f32_e32 v43, v42, v41
	v_fma_f32 v44, -v40, v43, v42
	v_fmac_f32_e32 v43, v44, v41
	v_fma_f32 v40, -v40, v43, v42
	v_div_fmas_f32 v40, v40, v41, v43
	v_div_fixup_f32 v25, v40, v25, 1.0
.LBB1_27:
	s_or_b64 exec, exec, s[0:1]
	v_and_b32_e32 v26, 0xffff0000, v26
	v_cmp_o_f32_e32 vcc, v26, v26
	v_mov_b32_e32 v41, 0
	v_mov_b32_e32 v40, 0
	s_and_saveexec_b64 s[0:1], vcc
	s_cbranch_execz .LBB1_29
; %bb.28:
	v_mul_f32_e32 v40, 0xbfb8aa3b, v26
	s_mov_b32 s2, 0xbfb8aa3b
	v_rndne_f32_e32 v42, v40
	v_sub_f32_e32 v43, v40, v42
	v_fma_f32 v40, v26, s2, -v40
	v_fmac_f32_e32 v40, 0xb2a5705f, v26
	v_add_f32_e32 v40, v43, v40
	v_exp_f32_e32 v40, v40
	v_cvt_i32_f32_e32 v42, v42
	s_mov_b32 s2, 0x42ce8ed0
	v_cmp_nlt_f32_e32 vcc, s2, v26
	s_mov_b32 s2, 0xc2b17218
	v_ldexp_f32 v40, v40, v42
	v_cndmask_b32_e32 v40, 0, v40, vcc
	v_mov_b32_e32 v42, 0x7f800000
	v_cmp_ngt_f32_e32 vcc, s2, v26
	v_cndmask_b32_e32 v26, v42, v40, vcc
	v_add_f32_e32 v26, 1.0, v26
	v_div_scale_f32 v40, s[2:3], v26, v26, 1.0
	v_rcp_f32_e32 v42, v40
	v_fma_f32 v43, -v40, v42, 1.0
	v_fmac_f32_e32 v42, v43, v42
	v_div_scale_f32 v43, vcc, 1.0, v26, 1.0
	v_mul_f32_e32 v44, v43, v42
	v_fma_f32 v45, -v40, v44, v43
	v_fmac_f32_e32 v44, v45, v42
	v_fma_f32 v40, -v40, v44, v43
	v_div_fmas_f32 v40, v40, v42, v44
	v_div_fixup_f32 v40, v40, v26, 1.0
.LBB1_29:
	s_or_b64 exec, exec, s[0:1]
	v_lshlrev_b32_e32 v26, 16, v27
	v_cmp_o_f32_e32 vcc, v26, v26
	s_and_saveexec_b64 s[0:1], vcc
	s_cbranch_execz .LBB1_31
; %bb.30:
	v_mul_f32_e32 v41, 0xbfb8aa3b, v26
	s_mov_b32 s2, 0xbfb8aa3b
	v_rndne_f32_e32 v42, v41
	v_sub_f32_e32 v43, v41, v42
	v_fma_f32 v41, v26, s2, -v41
	v_fmac_f32_e32 v41, 0xb2a5705f, v26
	v_add_f32_e32 v41, v43, v41
	v_exp_f32_e32 v41, v41
	v_cvt_i32_f32_e32 v42, v42
	s_mov_b32 s2, 0x42ce8ed0
	v_cmp_nlt_f32_e32 vcc, s2, v26
	s_mov_b32 s2, 0xc2b17218
	v_ldexp_f32 v41, v41, v42
	v_cndmask_b32_e32 v41, 0, v41, vcc
	v_mov_b32_e32 v42, 0x7f800000
	v_cmp_ngt_f32_e32 vcc, s2, v26
	v_cndmask_b32_e32 v26, v42, v41, vcc
	v_add_f32_e32 v26, 1.0, v26
	v_div_scale_f32 v41, s[2:3], v26, v26, 1.0
	v_rcp_f32_e32 v42, v41
	v_fma_f32 v43, -v41, v42, 1.0
	v_fmac_f32_e32 v42, v43, v42
	v_div_scale_f32 v43, vcc, 1.0, v26, 1.0
	v_mul_f32_e32 v44, v43, v42
	v_fma_f32 v45, -v41, v44, v43
	v_fmac_f32_e32 v44, v45, v42
	v_fma_f32 v41, -v41, v44, v43
	v_div_fmas_f32 v41, v41, v42, v44
	v_div_fixup_f32 v41, v41, v26, 1.0
.LBB1_31:
	s_or_b64 exec, exec, s[0:1]
	v_and_b32_e32 v42, 0xffff0000, v27
	v_cmp_o_f32_e32 vcc, v42, v42
	v_mov_b32_e32 v27, 0
	v_mov_b32_e32 v26, 0
	s_and_saveexec_b64 s[0:1], vcc
	s_cbranch_execz .LBB1_33
; %bb.32:
	v_mul_f32_e32 v26, 0xbfb8aa3b, v42
	s_mov_b32 s2, 0xbfb8aa3b
	v_rndne_f32_e32 v43, v26
	v_sub_f32_e32 v44, v26, v43
	v_fma_f32 v26, v42, s2, -v26
	v_fmac_f32_e32 v26, 0xb2a5705f, v42
	v_add_f32_e32 v26, v44, v26
	v_exp_f32_e32 v26, v26
	v_cvt_i32_f32_e32 v43, v43
	s_mov_b32 s2, 0x42ce8ed0
	v_cmp_nlt_f32_e32 vcc, s2, v42
	s_mov_b32 s2, 0xc2b17218
	v_ldexp_f32 v26, v26, v43
	v_cndmask_b32_e32 v26, 0, v26, vcc
	v_mov_b32_e32 v43, 0x7f800000
	v_cmp_ngt_f32_e32 vcc, s2, v42
	v_cndmask_b32_e32 v26, v43, v26, vcc
	v_add_f32_e32 v26, 1.0, v26
	v_div_scale_f32 v42, s[2:3], v26, v26, 1.0
	v_rcp_f32_e32 v43, v42
	v_fma_f32 v44, -v42, v43, 1.0
	v_fmac_f32_e32 v43, v44, v43
	v_div_scale_f32 v44, vcc, 1.0, v26, 1.0
	v_mul_f32_e32 v45, v44, v43
	v_fma_f32 v46, -v42, v45, v44
	v_fmac_f32_e32 v45, v46, v43
	v_fma_f32 v42, -v42, v45, v44
	v_div_fmas_f32 v42, v42, v43, v45
	v_div_fixup_f32 v26, v42, v26, 1.0
.LBB1_33:
	s_or_b64 exec, exec, s[0:1]
	v_lshlrev_b32_e32 v42, 16, v20
	v_cmp_o_f32_e32 vcc, v42, v42
	s_and_saveexec_b64 s[0:1], vcc
	s_cbranch_execz .LBB1_35
; %bb.34:
	v_mul_f32_e32 v27, 0xbfb8aa3b, v42
	s_mov_b32 s2, 0xbfb8aa3b
	v_rndne_f32_e32 v43, v27
	v_sub_f32_e32 v44, v27, v43
	v_fma_f32 v27, v42, s2, -v27
	v_fmac_f32_e32 v27, 0xb2a5705f, v42
	v_add_f32_e32 v27, v44, v27
	v_exp_f32_e32 v27, v27
	v_cvt_i32_f32_e32 v43, v43
	s_mov_b32 s2, 0x42ce8ed0
	v_cmp_nlt_f32_e32 vcc, s2, v42
	s_mov_b32 s2, 0xc2b17218
	v_ldexp_f32 v27, v27, v43
	v_cndmask_b32_e32 v27, 0, v27, vcc
	v_mov_b32_e32 v43, 0x7f800000
	v_cmp_ngt_f32_e32 vcc, s2, v42
	v_cndmask_b32_e32 v27, v43, v27, vcc
	v_add_f32_e32 v27, 1.0, v27
	v_div_scale_f32 v42, s[2:3], v27, v27, 1.0
	v_rcp_f32_e32 v43, v42
	v_fma_f32 v44, -v42, v43, 1.0
	v_fmac_f32_e32 v43, v44, v43
	v_div_scale_f32 v44, vcc, 1.0, v27, 1.0
	v_mul_f32_e32 v45, v44, v43
	v_fma_f32 v46, -v42, v45, v44
	v_fmac_f32_e32 v45, v46, v43
	v_fma_f32 v42, -v42, v45, v44
	v_div_fmas_f32 v42, v42, v43, v45
	v_div_fixup_f32 v27, v42, v27, 1.0
.LBB1_35:
	s_or_b64 exec, exec, s[0:1]
	v_and_b32_e32 v20, 0xffff0000, v20
	v_cmp_o_f32_e32 vcc, v20, v20
	v_mov_b32_e32 v43, 0
	v_mov_b32_e32 v42, 0
	s_and_saveexec_b64 s[0:1], vcc
	s_cbranch_execz .LBB1_37
; %bb.36:
	v_mul_f32_e32 v42, 0xbfb8aa3b, v20
	s_mov_b32 s2, 0xbfb8aa3b
	v_rndne_f32_e32 v44, v42
	v_sub_f32_e32 v45, v42, v44
	v_fma_f32 v42, v20, s2, -v42
	v_fmac_f32_e32 v42, 0xb2a5705f, v20
	v_add_f32_e32 v42, v45, v42
	v_exp_f32_e32 v42, v42
	v_cvt_i32_f32_e32 v44, v44
	s_mov_b32 s2, 0x42ce8ed0
	v_cmp_nlt_f32_e32 vcc, s2, v20
	s_mov_b32 s2, 0xc2b17218
	v_ldexp_f32 v42, v42, v44
	v_cndmask_b32_e32 v42, 0, v42, vcc
	v_mov_b32_e32 v44, 0x7f800000
	v_cmp_ngt_f32_e32 vcc, s2, v20
	v_cndmask_b32_e32 v20, v44, v42, vcc
	v_add_f32_e32 v20, 1.0, v20
	v_div_scale_f32 v42, s[2:3], v20, v20, 1.0
	v_rcp_f32_e32 v44, v42
	v_fma_f32 v45, -v42, v44, 1.0
	v_fmac_f32_e32 v44, v45, v44
	v_div_scale_f32 v45, vcc, 1.0, v20, 1.0
	v_mul_f32_e32 v46, v45, v44
	v_fma_f32 v47, -v42, v46, v45
	v_fmac_f32_e32 v46, v47, v44
	v_fma_f32 v42, -v42, v46, v45
	v_div_fmas_f32 v42, v42, v44, v46
	v_div_fixup_f32 v42, v42, v20, 1.0
.LBB1_37:
	s_or_b64 exec, exec, s[0:1]
	v_lshlrev_b32_e32 v20, 16, v21
	v_cmp_o_f32_e32 vcc, v20, v20
	s_and_saveexec_b64 s[0:1], vcc
	s_cbranch_execz .LBB1_39
; %bb.38:
	v_mul_f32_e32 v43, 0xbfb8aa3b, v20
	s_mov_b32 s2, 0xbfb8aa3b
	v_rndne_f32_e32 v44, v43
	v_sub_f32_e32 v45, v43, v44
	v_fma_f32 v43, v20, s2, -v43
	v_fmac_f32_e32 v43, 0xb2a5705f, v20
	v_add_f32_e32 v43, v45, v43
	v_exp_f32_e32 v43, v43
	v_cvt_i32_f32_e32 v44, v44
	s_mov_b32 s2, 0x42ce8ed0
	v_cmp_nlt_f32_e32 vcc, s2, v20
	s_mov_b32 s2, 0xc2b17218
	v_ldexp_f32 v43, v43, v44
	v_cndmask_b32_e32 v43, 0, v43, vcc
	v_mov_b32_e32 v44, 0x7f800000
	v_cmp_ngt_f32_e32 vcc, s2, v20
	v_cndmask_b32_e32 v20, v44, v43, vcc
	v_add_f32_e32 v20, 1.0, v20
	v_div_scale_f32 v43, s[2:3], v20, v20, 1.0
	v_rcp_f32_e32 v44, v43
	v_fma_f32 v45, -v43, v44, 1.0
	v_fmac_f32_e32 v44, v45, v44
	v_div_scale_f32 v45, vcc, 1.0, v20, 1.0
	v_mul_f32_e32 v46, v45, v44
	v_fma_f32 v47, -v43, v46, v45
	v_fmac_f32_e32 v46, v47, v44
	v_fma_f32 v43, -v43, v46, v45
	v_div_fmas_f32 v43, v43, v44, v46
	v_div_fixup_f32 v43, v43, v20, 1.0
.LBB1_39:
	s_or_b64 exec, exec, s[0:1]
	v_and_b32_e32 v44, 0xffff0000, v21
	v_cmp_o_f32_e32 vcc, v44, v44
	v_mov_b32_e32 v21, 0
	v_mov_b32_e32 v20, 0
	s_and_saveexec_b64 s[0:1], vcc
	s_cbranch_execz .LBB1_41
; %bb.40:
	v_mul_f32_e32 v20, 0xbfb8aa3b, v44
	s_mov_b32 s2, 0xbfb8aa3b
	v_rndne_f32_e32 v45, v20
	v_sub_f32_e32 v46, v20, v45
	v_fma_f32 v20, v44, s2, -v20
	v_fmac_f32_e32 v20, 0xb2a5705f, v44
	v_add_f32_e32 v20, v46, v20
	v_exp_f32_e32 v20, v20
	v_cvt_i32_f32_e32 v45, v45
	s_mov_b32 s2, 0x42ce8ed0
	v_cmp_nlt_f32_e32 vcc, s2, v44
	s_mov_b32 s2, 0xc2b17218
	v_ldexp_f32 v20, v20, v45
	v_cndmask_b32_e32 v20, 0, v20, vcc
	v_mov_b32_e32 v45, 0x7f800000
	v_cmp_ngt_f32_e32 vcc, s2, v44
	v_cndmask_b32_e32 v20, v45, v20, vcc
	v_add_f32_e32 v20, 1.0, v20
	v_div_scale_f32 v44, s[2:3], v20, v20, 1.0
	v_rcp_f32_e32 v45, v44
	v_fma_f32 v46, -v44, v45, 1.0
	v_fmac_f32_e32 v45, v46, v45
	v_div_scale_f32 v46, vcc, 1.0, v20, 1.0
	v_mul_f32_e32 v47, v46, v45
	v_fma_f32 v48, -v44, v47, v46
	v_fmac_f32_e32 v47, v48, v45
	v_fma_f32 v44, -v44, v47, v46
	v_div_fmas_f32 v44, v44, v45, v47
	v_div_fixup_f32 v20, v44, v20, 1.0
.LBB1_41:
	s_or_b64 exec, exec, s[0:1]
	v_lshlrev_b32_e32 v44, 16, v22
	v_cmp_o_f32_e32 vcc, v44, v44
	s_and_saveexec_b64 s[0:1], vcc
	s_cbranch_execz .LBB1_43
; %bb.42:
	v_mul_f32_e32 v21, 0xbfb8aa3b, v44
	s_mov_b32 s2, 0xbfb8aa3b
	v_rndne_f32_e32 v45, v21
	v_sub_f32_e32 v46, v21, v45
	v_fma_f32 v21, v44, s2, -v21
	v_fmac_f32_e32 v21, 0xb2a5705f, v44
	v_add_f32_e32 v21, v46, v21
	v_exp_f32_e32 v21, v21
	v_cvt_i32_f32_e32 v45, v45
	s_mov_b32 s2, 0x42ce8ed0
	v_cmp_nlt_f32_e32 vcc, s2, v44
	s_mov_b32 s2, 0xc2b17218
	v_ldexp_f32 v21, v21, v45
	v_cndmask_b32_e32 v21, 0, v21, vcc
	v_mov_b32_e32 v45, 0x7f800000
	v_cmp_ngt_f32_e32 vcc, s2, v44
	v_cndmask_b32_e32 v21, v45, v21, vcc
	v_add_f32_e32 v21, 1.0, v21
	v_div_scale_f32 v44, s[2:3], v21, v21, 1.0
	v_rcp_f32_e32 v45, v44
	v_fma_f32 v46, -v44, v45, 1.0
	v_fmac_f32_e32 v45, v46, v45
	v_div_scale_f32 v46, vcc, 1.0, v21, 1.0
	v_mul_f32_e32 v47, v46, v45
	v_fma_f32 v48, -v44, v47, v46
	v_fmac_f32_e32 v47, v48, v45
	v_fma_f32 v44, -v44, v47, v46
	v_div_fmas_f32 v44, v44, v45, v47
	v_div_fixup_f32 v21, v44, v21, 1.0
.LBB1_43:
	s_or_b64 exec, exec, s[0:1]
	v_and_b32_e32 v22, 0xffff0000, v22
	v_cmp_o_f32_e32 vcc, v22, v22
	v_mov_b32_e32 v45, 0
	v_mov_b32_e32 v44, 0
	s_and_saveexec_b64 s[0:1], vcc
	s_cbranch_execz .LBB1_45
; %bb.44:
	v_mul_f32_e32 v44, 0xbfb8aa3b, v22
	s_mov_b32 s2, 0xbfb8aa3b
	v_rndne_f32_e32 v46, v44
	v_sub_f32_e32 v47, v44, v46
	v_fma_f32 v44, v22, s2, -v44
	v_fmac_f32_e32 v44, 0xb2a5705f, v22
	v_add_f32_e32 v44, v47, v44
	v_exp_f32_e32 v44, v44
	v_cvt_i32_f32_e32 v46, v46
	s_mov_b32 s2, 0x42ce8ed0
	v_cmp_nlt_f32_e32 vcc, s2, v22
	s_mov_b32 s2, 0xc2b17218
	v_ldexp_f32 v44, v44, v46
	v_cndmask_b32_e32 v44, 0, v44, vcc
	v_mov_b32_e32 v46, 0x7f800000
	v_cmp_ngt_f32_e32 vcc, s2, v22
	v_cndmask_b32_e32 v22, v46, v44, vcc
	v_add_f32_e32 v22, 1.0, v22
	v_div_scale_f32 v44, s[2:3], v22, v22, 1.0
	v_rcp_f32_e32 v46, v44
	v_fma_f32 v47, -v44, v46, 1.0
	v_fmac_f32_e32 v46, v47, v46
	v_div_scale_f32 v47, vcc, 1.0, v22, 1.0
	v_mul_f32_e32 v48, v47, v46
	v_fma_f32 v49, -v44, v48, v47
	v_fmac_f32_e32 v48, v49, v46
	v_fma_f32 v44, -v44, v48, v47
	v_div_fmas_f32 v44, v44, v46, v48
	v_div_fixup_f32 v44, v44, v22, 1.0
.LBB1_45:
	s_or_b64 exec, exec, s[0:1]
	v_lshlrev_b32_e32 v22, 16, v23
	v_cmp_o_f32_e32 vcc, v22, v22
	s_and_saveexec_b64 s[0:1], vcc
	s_cbranch_execz .LBB1_47
; %bb.46:
	v_mul_f32_e32 v45, 0xbfb8aa3b, v22
	s_mov_b32 s2, 0xbfb8aa3b
	v_rndne_f32_e32 v46, v45
	v_sub_f32_e32 v47, v45, v46
	v_fma_f32 v45, v22, s2, -v45
	v_fmac_f32_e32 v45, 0xb2a5705f, v22
	v_add_f32_e32 v45, v47, v45
	v_exp_f32_e32 v45, v45
	v_cvt_i32_f32_e32 v46, v46
	s_mov_b32 s2, 0x42ce8ed0
	v_cmp_nlt_f32_e32 vcc, s2, v22
	s_mov_b32 s2, 0xc2b17218
	v_ldexp_f32 v45, v45, v46
	v_cndmask_b32_e32 v45, 0, v45, vcc
	v_mov_b32_e32 v46, 0x7f800000
	v_cmp_ngt_f32_e32 vcc, s2, v22
	v_cndmask_b32_e32 v22, v46, v45, vcc
	v_add_f32_e32 v22, 1.0, v22
	v_div_scale_f32 v45, s[2:3], v22, v22, 1.0
	v_rcp_f32_e32 v46, v45
	v_fma_f32 v47, -v45, v46, 1.0
	v_fmac_f32_e32 v46, v47, v46
	v_div_scale_f32 v47, vcc, 1.0, v22, 1.0
	v_mul_f32_e32 v48, v47, v46
	v_fma_f32 v49, -v45, v48, v47
	v_fmac_f32_e32 v48, v49, v46
	v_fma_f32 v45, -v45, v48, v47
	v_div_fmas_f32 v45, v45, v46, v48
	v_div_fixup_f32 v45, v45, v22, 1.0
.LBB1_47:
	s_or_b64 exec, exec, s[0:1]
	v_and_b32_e32 v46, 0xffff0000, v23
	v_cmp_o_f32_e32 vcc, v46, v46
	v_mov_b32_e32 v23, 0
	v_mov_b32_e32 v22, 0
	s_and_saveexec_b64 s[0:1], vcc
	s_cbranch_execz .LBB1_49
; %bb.48:
	v_mul_f32_e32 v22, 0xbfb8aa3b, v46
	s_mov_b32 s2, 0xbfb8aa3b
	v_rndne_f32_e32 v47, v22
	v_sub_f32_e32 v48, v22, v47
	v_fma_f32 v22, v46, s2, -v22
	v_fmac_f32_e32 v22, 0xb2a5705f, v46
	v_add_f32_e32 v22, v48, v22
	v_exp_f32_e32 v22, v22
	v_cvt_i32_f32_e32 v47, v47
	s_mov_b32 s2, 0x42ce8ed0
	v_cmp_nlt_f32_e32 vcc, s2, v46
	s_mov_b32 s2, 0xc2b17218
	v_ldexp_f32 v22, v22, v47
	v_cndmask_b32_e32 v22, 0, v22, vcc
	v_mov_b32_e32 v47, 0x7f800000
	v_cmp_ngt_f32_e32 vcc, s2, v46
	v_cndmask_b32_e32 v22, v47, v22, vcc
	v_add_f32_e32 v22, 1.0, v22
	v_div_scale_f32 v46, s[2:3], v22, v22, 1.0
	v_rcp_f32_e32 v47, v46
	v_fma_f32 v48, -v46, v47, 1.0
	v_fmac_f32_e32 v47, v48, v47
	v_div_scale_f32 v48, vcc, 1.0, v22, 1.0
	v_mul_f32_e32 v49, v48, v47
	v_fma_f32 v50, -v46, v49, v48
	v_fmac_f32_e32 v49, v50, v47
	v_fma_f32 v46, -v46, v49, v48
	v_div_fmas_f32 v46, v46, v47, v49
	v_div_fixup_f32 v22, v46, v22, 1.0
.LBB1_49:
	s_or_b64 exec, exec, s[0:1]
	v_lshlrev_b32_e32 v46, 16, v16
	v_cmp_o_f32_e32 vcc, v46, v46
	s_and_saveexec_b64 s[0:1], vcc
	s_cbranch_execz .LBB1_51
; %bb.50:
	v_mul_f32_e32 v23, 0xbfb8aa3b, v46
	s_mov_b32 s2, 0xbfb8aa3b
	v_rndne_f32_e32 v47, v23
	v_sub_f32_e32 v48, v23, v47
	v_fma_f32 v23, v46, s2, -v23
	v_fmac_f32_e32 v23, 0xb2a5705f, v46
	v_add_f32_e32 v23, v48, v23
	v_exp_f32_e32 v23, v23
	v_cvt_i32_f32_e32 v47, v47
	s_mov_b32 s2, 0x42ce8ed0
	v_cmp_nlt_f32_e32 vcc, s2, v46
	s_mov_b32 s2, 0xc2b17218
	v_ldexp_f32 v23, v23, v47
	v_cndmask_b32_e32 v23, 0, v23, vcc
	v_mov_b32_e32 v47, 0x7f800000
	v_cmp_ngt_f32_e32 vcc, s2, v46
	v_cndmask_b32_e32 v23, v47, v23, vcc
	v_add_f32_e32 v23, 1.0, v23
	v_div_scale_f32 v46, s[2:3], v23, v23, 1.0
	v_rcp_f32_e32 v47, v46
	v_fma_f32 v48, -v46, v47, 1.0
	v_fmac_f32_e32 v47, v48, v47
	v_div_scale_f32 v48, vcc, 1.0, v23, 1.0
	v_mul_f32_e32 v49, v48, v47
	v_fma_f32 v50, -v46, v49, v48
	v_fmac_f32_e32 v49, v50, v47
	v_fma_f32 v46, -v46, v49, v48
	v_div_fmas_f32 v46, v46, v47, v49
	v_div_fixup_f32 v23, v46, v23, 1.0
.LBB1_51:
	s_or_b64 exec, exec, s[0:1]
	v_and_b32_e32 v16, 0xffff0000, v16
	v_cmp_o_f32_e32 vcc, v16, v16
	v_mov_b32_e32 v47, 0
	v_mov_b32_e32 v46, 0
	s_and_saveexec_b64 s[0:1], vcc
	s_cbranch_execz .LBB1_53
; %bb.52:
	v_mul_f32_e32 v46, 0xbfb8aa3b, v16
	s_mov_b32 s2, 0xbfb8aa3b
	v_rndne_f32_e32 v48, v46
	v_sub_f32_e32 v49, v46, v48
	v_fma_f32 v46, v16, s2, -v46
	v_fmac_f32_e32 v46, 0xb2a5705f, v16
	v_add_f32_e32 v46, v49, v46
	v_exp_f32_e32 v46, v46
	v_cvt_i32_f32_e32 v48, v48
	s_mov_b32 s2, 0x42ce8ed0
	v_cmp_nlt_f32_e32 vcc, s2, v16
	s_mov_b32 s2, 0xc2b17218
	v_ldexp_f32 v46, v46, v48
	v_cndmask_b32_e32 v46, 0, v46, vcc
	v_mov_b32_e32 v48, 0x7f800000
	v_cmp_ngt_f32_e32 vcc, s2, v16
	v_cndmask_b32_e32 v16, v48, v46, vcc
	v_add_f32_e32 v16, 1.0, v16
	v_div_scale_f32 v46, s[2:3], v16, v16, 1.0
	v_rcp_f32_e32 v48, v46
	v_fma_f32 v49, -v46, v48, 1.0
	v_fmac_f32_e32 v48, v49, v48
	v_div_scale_f32 v49, vcc, 1.0, v16, 1.0
	v_mul_f32_e32 v50, v49, v48
	v_fma_f32 v51, -v46, v50, v49
	v_fmac_f32_e32 v50, v51, v48
	v_fma_f32 v46, -v46, v50, v49
	v_div_fmas_f32 v46, v46, v48, v50
	v_div_fixup_f32 v46, v46, v16, 1.0
.LBB1_53:
	s_or_b64 exec, exec, s[0:1]
	v_lshlrev_b32_e32 v16, 16, v17
	v_cmp_o_f32_e32 vcc, v16, v16
	s_and_saveexec_b64 s[0:1], vcc
	s_cbranch_execz .LBB1_55
; %bb.54:
	v_mul_f32_e32 v47, 0xbfb8aa3b, v16
	s_mov_b32 s2, 0xbfb8aa3b
	v_rndne_f32_e32 v48, v47
	v_sub_f32_e32 v49, v47, v48
	v_fma_f32 v47, v16, s2, -v47
	v_fmac_f32_e32 v47, 0xb2a5705f, v16
	v_add_f32_e32 v47, v49, v47
	v_exp_f32_e32 v47, v47
	v_cvt_i32_f32_e32 v48, v48
	s_mov_b32 s2, 0x42ce8ed0
	v_cmp_nlt_f32_e32 vcc, s2, v16
	s_mov_b32 s2, 0xc2b17218
	v_ldexp_f32 v47, v47, v48
	v_cndmask_b32_e32 v47, 0, v47, vcc
	v_mov_b32_e32 v48, 0x7f800000
	v_cmp_ngt_f32_e32 vcc, s2, v16
	v_cndmask_b32_e32 v16, v48, v47, vcc
	v_add_f32_e32 v16, 1.0, v16
	v_div_scale_f32 v47, s[2:3], v16, v16, 1.0
	v_rcp_f32_e32 v48, v47
	v_fma_f32 v49, -v47, v48, 1.0
	v_fmac_f32_e32 v48, v49, v48
	v_div_scale_f32 v49, vcc, 1.0, v16, 1.0
	v_mul_f32_e32 v50, v49, v48
	v_fma_f32 v51, -v47, v50, v49
	v_fmac_f32_e32 v50, v51, v48
	v_fma_f32 v47, -v47, v50, v49
	v_div_fmas_f32 v47, v47, v48, v50
	v_div_fixup_f32 v47, v47, v16, 1.0
.LBB1_55:
	s_or_b64 exec, exec, s[0:1]
	v_and_b32_e32 v48, 0xffff0000, v17
	v_cmp_o_f32_e32 vcc, v48, v48
	v_mov_b32_e32 v17, 0
	v_mov_b32_e32 v16, 0
	s_and_saveexec_b64 s[0:1], vcc
	s_cbranch_execz .LBB1_57
; %bb.56:
	v_mul_f32_e32 v16, 0xbfb8aa3b, v48
	s_mov_b32 s2, 0xbfb8aa3b
	v_rndne_f32_e32 v49, v16
	v_sub_f32_e32 v50, v16, v49
	v_fma_f32 v16, v48, s2, -v16
	v_fmac_f32_e32 v16, 0xb2a5705f, v48
	v_add_f32_e32 v16, v50, v16
	v_exp_f32_e32 v16, v16
	v_cvt_i32_f32_e32 v49, v49
	s_mov_b32 s2, 0x42ce8ed0
	v_cmp_nlt_f32_e32 vcc, s2, v48
	s_mov_b32 s2, 0xc2b17218
	v_ldexp_f32 v16, v16, v49
	v_cndmask_b32_e32 v16, 0, v16, vcc
	v_mov_b32_e32 v49, 0x7f800000
	v_cmp_ngt_f32_e32 vcc, s2, v48
	v_cndmask_b32_e32 v16, v49, v16, vcc
	v_add_f32_e32 v16, 1.0, v16
	v_div_scale_f32 v48, s[2:3], v16, v16, 1.0
	v_rcp_f32_e32 v49, v48
	v_fma_f32 v50, -v48, v49, 1.0
	v_fmac_f32_e32 v49, v50, v49
	v_div_scale_f32 v50, vcc, 1.0, v16, 1.0
	v_mul_f32_e32 v51, v50, v49
	v_fma_f32 v52, -v48, v51, v50
	v_fmac_f32_e32 v51, v52, v49
	v_fma_f32 v48, -v48, v51, v50
	v_div_fmas_f32 v48, v48, v49, v51
	v_div_fixup_f32 v16, v48, v16, 1.0
.LBB1_57:
	s_or_b64 exec, exec, s[0:1]
	v_lshlrev_b32_e32 v48, 16, v18
	v_cmp_o_f32_e32 vcc, v48, v48
	s_and_saveexec_b64 s[0:1], vcc
	s_cbranch_execz .LBB1_59
; %bb.58:
	v_mul_f32_e32 v17, 0xbfb8aa3b, v48
	s_mov_b32 s2, 0xbfb8aa3b
	v_rndne_f32_e32 v49, v17
	v_sub_f32_e32 v50, v17, v49
	v_fma_f32 v17, v48, s2, -v17
	v_fmac_f32_e32 v17, 0xb2a5705f, v48
	v_add_f32_e32 v17, v50, v17
	v_exp_f32_e32 v17, v17
	v_cvt_i32_f32_e32 v49, v49
	s_mov_b32 s2, 0x42ce8ed0
	v_cmp_nlt_f32_e32 vcc, s2, v48
	s_mov_b32 s2, 0xc2b17218
	v_ldexp_f32 v17, v17, v49
	v_cndmask_b32_e32 v17, 0, v17, vcc
	v_mov_b32_e32 v49, 0x7f800000
	v_cmp_ngt_f32_e32 vcc, s2, v48
	v_cndmask_b32_e32 v17, v49, v17, vcc
	v_add_f32_e32 v17, 1.0, v17
	v_div_scale_f32 v48, s[2:3], v17, v17, 1.0
	v_rcp_f32_e32 v49, v48
	v_fma_f32 v50, -v48, v49, 1.0
	v_fmac_f32_e32 v49, v50, v49
	v_div_scale_f32 v50, vcc, 1.0, v17, 1.0
	v_mul_f32_e32 v51, v50, v49
	v_fma_f32 v52, -v48, v51, v50
	v_fmac_f32_e32 v51, v52, v49
	v_fma_f32 v48, -v48, v51, v50
	v_div_fmas_f32 v48, v48, v49, v51
	v_div_fixup_f32 v17, v48, v17, 1.0
.LBB1_59:
	s_or_b64 exec, exec, s[0:1]
	v_and_b32_e32 v18, 0xffff0000, v18
	v_cmp_o_f32_e32 vcc, v18, v18
	v_mov_b32_e32 v49, 0
	v_mov_b32_e32 v48, 0
	s_and_saveexec_b64 s[0:1], vcc
	s_cbranch_execz .LBB1_61
; %bb.60:
	v_mul_f32_e32 v48, 0xbfb8aa3b, v18
	s_mov_b32 s2, 0xbfb8aa3b
	v_rndne_f32_e32 v50, v48
	v_sub_f32_e32 v51, v48, v50
	v_fma_f32 v48, v18, s2, -v48
	v_fmac_f32_e32 v48, 0xb2a5705f, v18
	v_add_f32_e32 v48, v51, v48
	v_exp_f32_e32 v48, v48
	v_cvt_i32_f32_e32 v50, v50
	s_mov_b32 s2, 0x42ce8ed0
	v_cmp_nlt_f32_e32 vcc, s2, v18
	s_mov_b32 s2, 0xc2b17218
	v_ldexp_f32 v48, v48, v50
	v_cndmask_b32_e32 v48, 0, v48, vcc
	v_mov_b32_e32 v50, 0x7f800000
	v_cmp_ngt_f32_e32 vcc, s2, v18
	v_cndmask_b32_e32 v18, v50, v48, vcc
	v_add_f32_e32 v18, 1.0, v18
	v_div_scale_f32 v48, s[2:3], v18, v18, 1.0
	v_rcp_f32_e32 v50, v48
	v_fma_f32 v51, -v48, v50, 1.0
	v_fmac_f32_e32 v50, v51, v50
	v_div_scale_f32 v51, vcc, 1.0, v18, 1.0
	v_mul_f32_e32 v52, v51, v50
	v_fma_f32 v53, -v48, v52, v51
	v_fmac_f32_e32 v52, v53, v50
	v_fma_f32 v48, -v48, v52, v51
	v_div_fmas_f32 v48, v48, v50, v52
	v_div_fixup_f32 v48, v48, v18, 1.0
.LBB1_61:
	s_or_b64 exec, exec, s[0:1]
	v_lshlrev_b32_e32 v18, 16, v19
	v_cmp_o_f32_e32 vcc, v18, v18
	s_and_saveexec_b64 s[0:1], vcc
	s_cbranch_execz .LBB1_63
; %bb.62:
	v_mul_f32_e32 v49, 0xbfb8aa3b, v18
	s_mov_b32 s2, 0xbfb8aa3b
	v_rndne_f32_e32 v50, v49
	v_sub_f32_e32 v51, v49, v50
	v_fma_f32 v49, v18, s2, -v49
	v_fmac_f32_e32 v49, 0xb2a5705f, v18
	v_add_f32_e32 v49, v51, v49
	v_exp_f32_e32 v49, v49
	v_cvt_i32_f32_e32 v50, v50
	s_mov_b32 s2, 0x42ce8ed0
	v_cmp_nlt_f32_e32 vcc, s2, v18
	s_mov_b32 s2, 0xc2b17218
	v_ldexp_f32 v49, v49, v50
	v_cndmask_b32_e32 v49, 0, v49, vcc
	v_mov_b32_e32 v50, 0x7f800000
	v_cmp_ngt_f32_e32 vcc, s2, v18
	v_cndmask_b32_e32 v18, v50, v49, vcc
	v_add_f32_e32 v18, 1.0, v18
	v_div_scale_f32 v49, s[2:3], v18, v18, 1.0
	v_rcp_f32_e32 v50, v49
	v_fma_f32 v51, -v49, v50, 1.0
	v_fmac_f32_e32 v50, v51, v50
	v_div_scale_f32 v51, vcc, 1.0, v18, 1.0
	v_mul_f32_e32 v52, v51, v50
	v_fma_f32 v53, -v49, v52, v51
	v_fmac_f32_e32 v52, v53, v50
	v_fma_f32 v49, -v49, v52, v51
	v_div_fmas_f32 v49, v49, v50, v52
	v_div_fixup_f32 v49, v49, v18, 1.0
.LBB1_63:
	s_or_b64 exec, exec, s[0:1]
	v_and_b32_e32 v18, 0xffff0000, v19
	v_cmp_o_f32_e32 vcc, v18, v18
	v_mov_b32_e32 v70, 0
	s_and_saveexec_b64 s[0:1], vcc
	s_cbranch_execz .LBB1_65
; %bb.64:
	v_mul_f32_e32 v19, 0xbfb8aa3b, v18
	s_mov_b32 s2, 0xbfb8aa3b
	v_rndne_f32_e32 v50, v19
	v_sub_f32_e32 v51, v19, v50
	v_fma_f32 v19, v18, s2, -v19
	v_fmac_f32_e32 v19, 0xb2a5705f, v18
	v_add_f32_e32 v19, v51, v19
	v_exp_f32_e32 v19, v19
	v_cvt_i32_f32_e32 v50, v50
	s_mov_b32 s2, 0x42ce8ed0
	v_cmp_nlt_f32_e32 vcc, s2, v18
	s_mov_b32 s2, 0xc2b17218
	v_ldexp_f32 v19, v19, v50
	v_cndmask_b32_e32 v19, 0, v19, vcc
	v_mov_b32_e32 v50, 0x7f800000
	v_cmp_ngt_f32_e32 vcc, s2, v18
	v_cndmask_b32_e32 v18, v50, v19, vcc
	v_add_f32_e32 v18, 1.0, v18
	v_div_scale_f32 v19, s[2:3], v18, v18, 1.0
	v_rcp_f32_e32 v50, v19
	v_fma_f32 v51, -v19, v50, 1.0
	v_fmac_f32_e32 v50, v51, v50
	v_div_scale_f32 v51, vcc, 1.0, v18, 1.0
	v_mul_f32_e32 v52, v51, v50
	v_fma_f32 v53, -v19, v52, v51
	v_fmac_f32_e32 v52, v53, v50
	v_fma_f32 v19, -v19, v52, v51
	v_div_fmas_f32 v19, v19, v50, v52
	v_div_fixup_f32 v70, v19, v18, 1.0
.LBB1_65:
	s_or_b64 exec, exec, s[0:1]
	s_waitcnt vmcnt(0)
	v_lshlrev_b32_e32 v50, 16, v12
	v_and_b32_e32 v18, 0xffff0000, v12
	v_lshlrev_b32_e32 v19, 16, v13
	v_add_f32_e32 v71, v69, v50
	v_pk_add_f32 v[18:19], v[34:35], v[18:19]
	v_max_f32_e32 v50, 0xff7fffff, v71
	s_mov_b32 s2, 0xff7fffff
	v_cmp_ngt_f32_e32 vcc, v18, v50
	v_mov_b32_e32 v12, v50
	v_mov_b32_e32 v52, v18
	s_and_saveexec_b64 s[0:1], vcc
	s_cbranch_execz .LBB1_69
; %bb.66:
	v_cmp_lt_f32_e32 vcc, s2, v18
	v_mov_b32_e32 v12, 0xff7fffff
	s_and_saveexec_b64 s[2:3], vcc
; %bb.67:
	v_mov_b32_e32 v12, v18
; %bb.68:
	s_or_b64 exec, exec, s[2:3]
	v_mov_b32_e32 v52, v50
.LBB1_69:
	s_or_b64 exec, exec, s[0:1]
	v_cmp_ngt_f32_e32 vcc, v19, v52
	v_mov_b32_e32 v51, v52
	v_mov_b32_e32 v50, v19
	s_and_saveexec_b64 s[0:1], vcc
	s_cbranch_execz .LBB1_73
; %bb.70:
	v_cmp_gt_f32_e32 vcc, v19, v12
	s_and_saveexec_b64 s[2:3], vcc
; %bb.71:
	v_mov_b32_e32 v12, v19
; %bb.72:
	s_or_b64 exec, exec, s[2:3]
	v_mov_b32_e32 v51, v12
	v_mov_b32_e32 v50, v52
.LBB1_73:
	s_or_b64 exec, exec, s[0:1]
	v_and_b32_e32 v12, 0xffff0000, v13
	v_lshlrev_b32_e32 v13, 16, v14
	v_pk_add_f32 v[12:13], v[28:29], v[12:13]
	v_cmp_ngt_f32_e32 vcc, v12, v50
	v_mov_b32_e32 v55, v50
	v_mov_b32_e32 v54, v12
	s_and_saveexec_b64 s[0:1], vcc
	s_cbranch_execz .LBB1_77
; %bb.74:
	v_cmp_gt_f32_e32 vcc, v12, v51
	s_and_saveexec_b64 s[2:3], vcc
; %bb.75:
	v_mov_b32_e32 v51, v12
; %bb.76:
	s_or_b64 exec, exec, s[2:3]
	v_mov_b32_e32 v55, v51
	v_mov_b32_e32 v54, v50
.LBB1_77:
	s_or_b64 exec, exec, s[0:1]
	v_cmp_ngt_f32_e32 vcc, v13, v54
	v_mov_b32_e32 v53, v54
	v_mov_b32_e32 v52, v13
	s_and_saveexec_b64 s[0:1], vcc
	s_cbranch_execz .LBB1_81
; %bb.78:
	v_cmp_gt_f32_e32 vcc, v13, v55
	s_and_saveexec_b64 s[2:3], vcc
; %bb.79:
	v_mov_b32_e32 v55, v13
; %bb.80:
	s_or_b64 exec, exec, s[2:3]
	v_mov_b32_e32 v53, v55
	v_mov_b32_e32 v52, v54
.LBB1_81:
	s_or_b64 exec, exec, s[0:1]
	v_and_b32_e32 v50, 0xffff0000, v14
	v_lshlrev_b32_e32 v51, 16, v15
	v_pk_add_f32 v[50:51], v[36:37], v[50:51]
	v_cmp_ngt_f32_e32 vcc, v50, v52
	v_mov_b32_e32 v54, v52
	v_mov_b32_e32 v14, v50
	s_and_saveexec_b64 s[0:1], vcc
	s_cbranch_execz .LBB1_85
; %bb.82:
	v_cmp_gt_f32_e32 vcc, v50, v53
	s_and_saveexec_b64 s[2:3], vcc
; %bb.83:
	v_mov_b32_e32 v53, v50
; %bb.84:
	s_or_b64 exec, exec, s[2:3]
	v_mov_b32_e32 v54, v53
	v_mov_b32_e32 v14, v52
.LBB1_85:
	;; [unrolled: 35-line block ×14, first 2 shown]
	s_or_b64 exec, exec, s[0:1]
	v_cmp_ngt_f32_e32 vcc, v65, v67
	v_mov_b32_e32 v6, v67
	v_mov_b32_e32 v2, v65
	s_and_saveexec_b64 s[0:1], vcc
	s_cbranch_execz .LBB1_185
; %bb.182:
	v_cmp_gt_f32_e32 vcc, v65, v72
	s_and_saveexec_b64 s[2:3], vcc
; %bb.183:
	v_mov_b32_e32 v72, v65
; %bb.184:
	s_or_b64 exec, exec, s[2:3]
	v_mov_b32_e32 v6, v72
	v_mov_b32_e32 v2, v67
.LBB1_185:
	s_or_b64 exec, exec, s[0:1]
	v_and_b32_e32 v3, 0xffff0000, v3
	v_add_f32_e32 v73, v70, v3
	v_cmp_ngt_f32_e32 vcc, v73, v2
	v_mov_b32_e32 v3, v2
	v_mov_b32_e32 v7, v73
	s_and_saveexec_b64 s[0:1], vcc
	s_cbranch_execz .LBB1_189
; %bb.186:
	v_cmp_gt_f32_e32 vcc, v73, v6
	s_and_saveexec_b64 s[2:3], vcc
; %bb.187:
	v_mov_b32_e32 v6, v73
; %bb.188:
	s_or_b64 exec, exec, s[2:3]
	v_mov_b32_e32 v3, v6
	v_mov_b32_e32 v7, v2
.LBB1_189:
	s_or_b64 exec, exec, s[0:1]
	v_cmp_lt_i64_e64 s[0:1], s[74:75], 8
	v_lshlrev_b32_e32 v74, 5, v68
	s_and_b64 vcc, exec, s[0:1]
	s_cbranch_vccz .LBB1_192
; %bb.190:
	s_sub_u32 s6, 8, s74
	s_subb_u32 s7, 0, s75
	v_add_f32_e32 v2, v3, v7
	s_mov_b64 s[8:9], 0
	v_mov_b32_e32 v3, 0x7f7fffff
.LBB1_191:                              ; =>This Inner Loop Header: Depth=1
	v_mov_b32_dpp v6, v74 quad_perm:[1,0,3,2] row_mask:0xf bank_mask:0xf
	v_mov_b32_dpp v7, v2 quad_perm:[1,0,3,2] row_mask:0xf bank_mask:0xf
	v_cmp_eq_f32_e64 s[0:1], v2, v7
	v_cmp_lt_i32_e64 s[2:3], v74, v6
	v_cmp_lt_f32_e32 vcc, v2, v7
	s_and_b64 s[0:1], s[2:3], s[0:1]
	s_or_b64 vcc, vcc, s[0:1]
	v_cndmask_b32_e32 v7, v7, v2, vcc
	v_cndmask_b32_e32 v6, v6, v74, vcc
	s_nop 0
	v_mov_b32_dpp v72, v7 quad_perm:[2,3,0,1] row_mask:0xf bank_mask:0xf
	v_mov_b32_dpp v67, v6 quad_perm:[2,3,0,1] row_mask:0xf bank_mask:0xf
	v_cmp_eq_f32_e32 vcc, v7, v72
	v_cmp_lt_i32_e64 s[0:1], v6, v67
	s_and_b64 vcc, vcc, s[0:1]
	v_cmp_lt_f32_e64 s[0:1], v7, v72
	v_cndmask_b32_e32 v75, v72, v7, vcc
	s_or_b64 vcc, s[0:1], vcc
	v_cndmask_b32_e64 v7, v75, v7, s[0:1]
	v_cndmask_b32_e32 v6, v67, v6, vcc
	s_add_u32 s8, s8, 1
	v_mov_b32_dpp v72, v7 row_half_mirror row_mask:0xf bank_mask:0xf
	v_mov_b32_dpp v67, v6 row_half_mirror row_mask:0xf bank_mask:0xf
	v_min_i32_e32 v75, v6, v67
	v_cmp_eq_f32_e32 vcc, v7, v72
	v_cndmask_b32_e32 v67, v67, v75, vcc
	v_cmp_lt_f32_e32 vcc, v7, v72
	v_cndmask_b32_e32 v6, v67, v6, vcc
	v_ashrrev_i32_e32 v7, 31, v6
	v_lshrrev_b32_e32 v7, 27, v7
	v_add_u32_e32 v6, v6, v7
	v_ashrrev_i32_e32 v6, 5, v6
	s_addc_u32 s9, s9, 0
	v_cmp_eq_u32_e32 vcc, v68, v6
	v_pk_mov_b32 v[6:7], s[8:9], s[8:9] op_sel:[0,1]
	v_cndmask_b32_e32 v71, v71, v3, vcc
	v_cndmask_b32_e32 v2, v2, v3, vcc
	v_cmp_le_i64_e32 vcc, s[6:7], v[6:7]
	s_cbranch_vccz .LBB1_191
.LBB1_192:
	s_sub_u32 s72, s76, s78
	s_subb_u32 s73, s77, s79
	s_mov_b64 s[0:1], src_shared_base
	s_cmp_lg_u32 0, -1
	s_cselect_b32 s0, s1, 0
	s_cselect_b32 s1, 0, 0
	s_add_u32 s1, s1, 0xff
	s_addc_u32 s0, s0, 0
	s_and_b32 s1, s1, 0xffffff00
	v_mov_b32_e32 v2, s1
	v_mov_b32_e32 v3, s0
	v_lshlrev_b32_e32 v66, 2, v66
	v_mad_u64_u32 v[6:7], s[0:1], v66, s76, v[2:3]
	s_load_dword s33, s[4:5], 0x48
	v_mov_b32_e32 v2, v7
	v_mad_u64_u32 v[2:3], s[0:1], v66, s77, v[2:3]
	v_cmp_lt_i64_e64 s[0:1], s[72:73], 1
	v_mov_b32_e32 v7, v2
	s_and_b64 vcc, exec, s[0:1]
	v_cmp_eq_u32_e64 s[0:1], 0, v68
	s_cbranch_vccnz .LBB1_203
; %bb.193:
	s_waitcnt lgkmcnt(0)
	v_mad_u64_u32 v[2:3], s[2:3], s33, v32, 0
	s_ashr_i32 s6, s33, 31
	v_mov_b32_e32 v66, v3
	v_mad_u64_u32 v[66:67], s[2:3], s6, v32, v[66:67]
	v_mov_b32_e32 v3, v66
	v_lshlrev_b64 v[2:3], 2, v[2:3]
	v_mov_b32_e32 v66, s71
	v_add_co_u32_e32 v2, vcc, s70, v2
	v_addc_co_u32_e32 v3, vcc, v66, v3, vcc
	v_mul_u32_u24_e32 v75, 32, v68
	s_mov_b64 s[74:75], 0
	v_mov_b32_e32 v72, 0
	s_mov_b32 s84, 0x7f7fffff
	v_mov_b32_e32 v76, 0xff7fffff
	v_pk_mov_b32 v[66:67], v[6:7], v[6:7] op_sel:[0,1]
	s_branch .LBB1_195
.LBB1_194:                              ;   in Loop: Header=BB1_195 Depth=1
	s_or_b64 exec, exec, s[2:3]
	v_add_co_u32_e32 v2, vcc, 4, v2
	s_add_u32 s74, s74, 1
	v_addc_co_u32_e32 v3, vcc, 0, v3, vcc
	s_addc_u32 s75, s75, 0
	v_add_co_u32_e32 v66, vcc, 4, v66
	v_addc_co_u32_e32 v67, vcc, 0, v67, vcc
	v_pk_mov_b32 v[78:79], s[74:75], s[74:75] op_sel:[0,1]
	v_cmp_le_i64_e32 vcc, s[72:73], v[78:79]
	s_cbranch_vccnz .LBB1_204
.LBB1_195:                              ; =>This Inner Loop Header: Depth=1
	v_cmp_neq_f32_e32 vcc, s84, v71
	v_mov_b32_e32 v77, 0xff7fffff
	v_mov_b32_e32 v78, v74
	s_and_saveexec_b64 s[2:3], vcc
	s_cbranch_execz .LBB1_197
; %bb.196:                              ;   in Loop: Header=BB1_195 Depth=1
	v_cmp_gt_f32_e32 vcc, v18, v71
	v_cndmask_b32_e32 v77, v71, v18, vcc
	v_cndmask_b32_e64 v78, 0, 1, vcc
	v_cmp_gt_f32_e32 vcc, v19, v77
	v_cndmask_b32_e32 v77, v77, v19, vcc
	v_cndmask_b32_e64 v78, v78, 2, vcc
	;; [unrolled: 3-line block ×30, first 2 shown]
	v_cmp_gt_f32_e32 vcc, v73, v77
	v_cndmask_b32_e64 v78, v78, 31, vcc
	v_cndmask_b32_e32 v77, v77, v73, vcc
	v_or_b32_e32 v78, v78, v74
.LBB1_197:                              ;   in Loop: Header=BB1_195 Depth=1
	s_or_b64 exec, exec, s[2:3]
	s_nop 0
	v_mov_b32_dpp v79, v78 quad_perm:[1,0,3,2] row_mask:0xf bank_mask:0xf
	v_mov_b32_dpp v80, v77 quad_perm:[1,0,3,2] row_mask:0xf bank_mask:0xf
	v_cmp_eq_f32_e64 s[2:3], v77, v80
	v_cmp_lt_i32_e64 s[6:7], v78, v79
	v_cmp_gt_f32_e32 vcc, v77, v80
	s_and_b64 s[2:3], s[2:3], s[6:7]
	s_or_b64 vcc, vcc, s[2:3]
	v_cndmask_b32_e32 v77, v80, v77, vcc
	v_cndmask_b32_e32 v78, v79, v78, vcc
	s_nop 0
	v_mov_b32_dpp v80, v77 quad_perm:[2,3,0,1] row_mask:0xf bank_mask:0xf
	v_mov_b32_dpp v79, v78 quad_perm:[2,3,0,1] row_mask:0xf bank_mask:0xf
	v_cmp_eq_f32_e32 vcc, v77, v80
	v_cmp_lt_i32_e64 s[2:3], v78, v79
	s_and_b64 vcc, vcc, s[2:3]
	v_cmp_gt_f32_e64 s[2:3], v77, v80
	v_cndmask_b32_e32 v81, v80, v77, vcc
	s_or_b64 vcc, s[2:3], vcc
	v_cndmask_b32_e64 v77, v81, v77, s[2:3]
	v_cndmask_b32_e32 v78, v79, v78, vcc
	s_nop 0
	v_mov_b32_dpp v80, v77 row_half_mirror row_mask:0xf bank_mask:0xf
	v_mov_b32_dpp v79, v78 row_half_mirror row_mask:0xf bank_mask:0xf
	v_min_i32_e32 v81, v78, v79
	v_cmp_eq_f32_e32 vcc, v77, v80
	v_cndmask_b32_e32 v79, v79, v81, vcc
	v_cmp_gt_f32_e32 vcc, v77, v80
	v_cndmask_b32_e32 v77, v79, v78, vcc
	v_ashrrev_i32_e32 v78, 31, v77
	v_lshrrev_b32_e32 v78, 27, v78
	v_add_u32_e32 v78, v77, v78
	v_ashrrev_i32_e32 v78, 5, v78
	v_cmp_eq_u32_e32 vcc, v68, v78
	s_and_saveexec_b64 s[80:81], vcc
	s_cbranch_execz .LBB1_201
; %bb.198:                              ;   in Loop: Header=BB1_195 Depth=1
	v_sub_u32_e32 v78, v77, v75
	v_cmp_eq_u32_e64 s[62:63], 2, v78
	v_cmp_eq_u32_e64 s[64:65], 1, v78
	;; [unrolled: 1-line block ×30, first 2 shown]
	v_cmp_eq_u32_e32 vcc, 31, v78
	v_cmp_gt_u32_e64 s[66:67], 32, v78
	s_and_saveexec_b64 s[82:83], s[66:67]
	s_cbranch_execz .LBB1_200
; %bb.199:                              ;   in Loop: Header=BB1_195 Depth=1
	v_cndmask_b32_e64 v79, v69, v34, s[64:65]
	v_cndmask_b32_e64 v79, v79, v35, s[62:63]
	;; [unrolled: 1-line block ×30, first 2 shown]
	v_cndmask_b32_e32 v79, v79, v70, vcc
	flat_store_dword v[66:67], v79
.LBB1_200:                              ;   in Loop: Header=BB1_195 Depth=1
	s_or_b64 exec, exec, s[82:83]
	v_cmp_ne_u32_e64 s[66:67], 0, v78
	v_cndmask_b32_e64 v71, v76, v71, s[66:67]
	v_cndmask_b32_e64 v19, v19, v76, s[62:63]
	;; [unrolled: 1-line block ×31, first 2 shown]
	v_cndmask_b32_e32 v73, v73, v76, vcc
	global_store_dword v[2:3], v77, off
.LBB1_201:                              ;   in Loop: Header=BB1_195 Depth=1
	s_or_b64 exec, exec, s[80:81]
	s_waitcnt lgkmcnt(0)
	s_barrier
	s_and_saveexec_b64 s[2:3], s[0:1]
	s_cbranch_execz .LBB1_194
; %bb.202:                              ;   in Loop: Header=BB1_195 Depth=1
	flat_load_dword v77, v[66:67]
	s_waitcnt vmcnt(0) lgkmcnt(0)
	v_add_f32_e32 v72, v72, v77
	s_branch .LBB1_194
.LBB1_203:
	v_mov_b32_e32 v72, 0
.LBB1_204:
	v_cmp_eq_u32_e64 s[0:1], 0, v68
	v_cmp_gt_i64_e64 s[2:3], s[78:79], 0
	s_and_b64 s[6:7], s[0:1], s[2:3]
	s_and_saveexec_b64 s[2:3], s[6:7]
	s_cbranch_execz .LBB1_217
; %bb.205:
	v_cmp_le_u64_e32 vcc, s[78:79], v[32:33]
	v_pk_mov_b32 v[0:1], v[32:33], v[32:33] op_sel:[0,1]
	s_and_saveexec_b64 s[6:7], vcc
	s_cbranch_execz .LBB1_207
; %bb.206:
	v_cvt_f32_u32_e32 v0, s78
	s_sub_i32 s8, 0, s78
	v_rcp_iflag_f32_e32 v0, v0
	v_mul_f32_e32 v0, 0x4f7ffffe, v0
	v_cvt_u32_f32_e32 v0, v0
	v_mul_lo_u32 v1, s8, v0
	v_mul_hi_u32 v1, v0, v1
	v_add_u32_e32 v0, v0, v1
	v_mul_hi_u32 v0, v32, v0
	v_mul_lo_u32 v0, v0, s78
	v_sub_u32_e32 v0, v32, v0
	v_subrev_u32_e32 v1, s78, v0
	v_cmp_le_u32_e32 vcc, s78, v0
	v_cndmask_b32_e32 v0, v0, v1, vcc
	v_subrev_u32_e32 v1, s78, v0
	v_cmp_le_u32_e32 vcc, s78, v0
	v_cndmask_b32_e32 v0, v0, v1, vcc
	v_mov_b32_e32 v1, 0
.LBB1_207:
	s_or_b64 exec, exec, s[6:7]
	s_load_dwordx2 s[4:5], s[4:5], 0x40
	v_pk_mov_b32 v[2:3], s[72:73], s[72:73] op_sel:[0,1]
	s_waitcnt lgkmcnt(0)
	v_mad_u64_u32 v[10:11], s[6:7], s33, v32, v[2:3]
	s_ashr_i32 s8, s33, 31
	v_mov_b32_e32 v2, v11
	v_cvt_f64_f32_e32 v[8:9], v72
	v_mad_u64_u32 v[2:3], s[6:7], s8, v32, v[2:3]
	v_div_scale_f64 v[12:13], s[6:7], s[4:5], s[4:5], v[8:9]
	v_mov_b32_e32 v11, v2
	v_rcp_f64_e32 v[14:15], v[12:13]
	v_lshlrev_b64 v[2:3], 2, v[10:11]
	v_mov_b32_e32 v5, s71
	v_add_co_u32_e32 v4, vcc, s70, v2
	v_add_u32_e32 v16, 0x100, v0
	v_addc_co_u32_e32 v5, vcc, v5, v3, vcc
	global_store_dword v[4:5], v16, off
	v_fma_f64 v[16:17], -v[12:13], v[14:15], 1.0
	v_fmac_f64_e32 v[14:15], v[14:15], v[16:17]
	v_fma_f64 v[16:17], -v[12:13], v[14:15], 1.0
	v_fmac_f64_e32 v[14:15], v[14:15], v[16:17]
	v_div_scale_f64 v[16:17], vcc, v[8:9], s[4:5], v[8:9]
	v_mul_f64 v[18:19], v[16:17], v[14:15]
	v_fma_f64 v[12:13], -v[12:13], v[18:19], v[16:17]
	s_nop 1
	v_div_fmas_f64 v[12:13], v[12:13], v[14:15], v[18:19]
	v_div_fixup_f64 v[8:9], v[12:13], s[4:5], v[8:9]
	v_cvt_f32_f64_e32 v8, v[8:9]
	v_mov_b32_e32 v9, s69
	v_add_co_u32_e32 v14, vcc, s68, v2
	v_addc_co_u32_e32 v15, vcc, v9, v3, vcc
	v_cmp_lt_u64_e64 s[4:5], s[78:79], 2
	s_and_b64 vcc, exec, s[4:5]
	global_store_dword v[14:15], v8, off
	s_cbranch_vccnz .LBB1_217
; %bb.208:
	s_cmp_eq_u64 s[78:79], 2
	s_cbranch_scc1 .LBB1_213
; %bb.209:
	v_add_co_u32_e32 v2, vcc, 1, v0
	v_addc_co_u32_e32 v3, vcc, 0, v1, vcc
	s_add_u32 s4, s78, -1
	v_add_co_u32_e32 v12, vcc, 4, v4
	s_addc_u32 s5, s79, -1
	v_addc_co_u32_e32 v13, vcc, 0, v5, vcc
	s_and_b32 s6, s4, -2
	s_mov_b32 s7, s5
	v_add_co_u32_e32 v14, vcc, 4, v14
	v_pk_mov_b32 v[4:5], v[2:3], v[2:3] op_sel:[0,1]
	v_mov_b32_e32 v9, v8
	v_addc_co_u32_e32 v15, vcc, 0, v15, vcc
	s_mov_b64 s[8:9], s[6:7]
	v_pk_mov_b32 v[2:3], v[0:1], v[0:1] op_sel:[0,1]
.LBB1_210:                              ; =>This Inner Loop Header: Depth=1
	v_add_u32_e32 v17, 0x101, v4
	v_add_co_u32_e32 v4, vcc, 2, v4
	v_addc_co_u32_e32 v5, vcc, 0, v5, vcc
	v_add_u32_e32 v16, 0x101, v2
	v_add_co_u32_e32 v2, vcc, 2, v2
	v_addc_co_u32_e32 v3, vcc, 0, v3, vcc
	global_store_dwordx2 v[14:15], v[8:9], off
	v_add_co_u32_e32 v14, vcc, 8, v14
	v_addc_co_u32_e32 v15, vcc, 0, v15, vcc
	s_add_u32 s8, s8, -2
	global_store_dwordx2 v[12:13], v[16:17], off
	s_addc_u32 s9, s9, -1
	v_add_co_u32_e32 v12, vcc, 8, v12
	s_cmp_lg_u64 s[8:9], 0
	v_addc_co_u32_e32 v13, vcc, 0, v13, vcc
	s_cbranch_scc1 .LBB1_210
; %bb.211:
	s_cmp_eq_u64 s[4:5], s[6:7]
	s_cbranch_scc1 .LBB1_214
; %bb.212:
	v_mov_b32_e32 v1, s7
	v_add_co_u32_e32 v10, vcc, s6, v10
	s_or_b32 s4, s4, 1
	v_add_u32_e32 v0, s6, v0
	v_addc_co_u32_e32 v11, vcc, v11, v1, vcc
	s_cbranch_execnz .LBB1_215
	s_branch .LBB1_217
.LBB1_213:
	s_mov_b32 s4, 1
	s_cbranch_execnz .LBB1_215
	s_branch .LBB1_217
.LBB1_214:
	s_mov_b32 s4, 1
                                        ; implicit-def: $vgpr10_vgpr11
                                        ; implicit-def: $vgpr0
	s_branch .LBB1_217
.LBB1_215:
	v_add_u32_e32 v9, 0x101, v0
	v_lshlrev_b64 v[0:1], 2, v[10:11]
	v_add_co_u32_e32 v2, vcc, 4, v0
	v_addc_co_u32_e32 v3, vcc, 0, v1, vcc
	v_mov_b32_e32 v1, s69
	v_add_co_u32_e32 v0, vcc, s68, v2
	v_addc_co_u32_e32 v1, vcc, v1, v3, vcc
	v_mov_b32_e32 v4, s71
	v_add_co_u32_e32 v2, vcc, s70, v2
	s_mov_b32 s5, 0
	v_addc_co_u32_e32 v3, vcc, v4, v3, vcc
	v_pk_mov_b32 v[4:5], s[78:79], s[78:79] op_sel:[0,1]
.LBB1_216:                              ; =>This Inner Loop Header: Depth=1
	global_store_dword v[2:3], v9, off
	global_store_dword v[0:1], v8, off
	v_add_co_u32_e32 v0, vcc, 4, v0
	v_addc_co_u32_e32 v1, vcc, 0, v1, vcc
	s_add_u32 s4, s4, 1
	v_add_co_u32_e32 v2, vcc, 4, v2
	v_addc_co_u32_e32 v3, vcc, 0, v3, vcc
	s_addc_u32 s5, s5, 0
	v_cmp_lt_u64_e32 vcc, s[4:5], v[4:5]
	v_add_u32_e32 v9, 1, v9
	s_cbranch_vccnz .LBB1_216
.LBB1_217:
	s_or_b64 exec, exec, s[2:3]
	v_cmp_gt_i64_e64 s[4:5], s[76:77], 0
	s_mov_b64 s[2:3], 0
	s_and_b64 s[0:1], s[0:1], s[4:5]
	s_waitcnt lgkmcnt(0)
	s_barrier
	s_and_b64 exec, exec, s[0:1]
	s_cbranch_execz .LBB1_224
; %bb.218:
	v_mad_u64_u32 v[0:1], s[0:1], s33, v32, 0
	s_ashr_i32 s4, s33, 31
	v_mov_b32_e32 v2, v1
	v_mad_u64_u32 v[2:3], s[0:1], s4, v32, v[2:3]
	v_mov_b32_e32 v1, v2
	v_lshlrev_b64 v[0:1], 2, v[0:1]
	v_mov_b32_e32 v2, s69
	v_add_co_u32_e32 v4, vcc, s68, v0
	v_addc_co_u32_e32 v5, vcc, v2, v1, vcc
	v_cmp_lt_u64_e64 s[0:1], s[76:77], 8
	s_and_b64 vcc, exec, s[0:1]
	s_cbranch_vccnz .LBB1_221
; %bb.219:
	s_and_b32 s3, s77, 0x7fffffff
	s_and_b32 s2, s76, -8
	s_mov_b64 s[0:1], 0
	s_mov_b64 s[4:5], s[2:3]
.LBB1_220:                              ; =>This Inner Loop Header: Depth=1
	v_mov_b32_e32 v1, s1
	v_add_co_u32_e32 v2, vcc, s0, v6
	v_addc_co_u32_e32 v3, vcc, v7, v1, vcc
	flat_load_dword v8, v[2:3]
	v_add_co_u32_e32 v0, vcc, s0, v4
	v_addc_co_u32_e32 v1, vcc, v5, v1, vcc
	s_add_u32 s0, s0, 32
	s_addc_u32 s1, s1, 0
	s_add_u32 s4, s4, -8
	s_addc_u32 s5, s5, -1
	s_cmp_lg_u64 s[4:5], 0
	s_waitcnt vmcnt(0) lgkmcnt(0)
	v_div_scale_f32 v9, s[6:7], v72, v72, v8
	v_rcp_f32_e32 v11, v9
	v_div_scale_f32 v10, vcc, v8, v72, v8
	v_fma_f32 v12, -v9, v11, 1.0
	v_fmac_f32_e32 v11, v12, v11
	v_mul_f32_e32 v12, v10, v11
	v_fma_f32 v13, -v9, v12, v10
	v_fmac_f32_e32 v12, v13, v11
	v_fma_f32 v9, -v9, v12, v10
	v_div_fmas_f32 v9, v9, v11, v12
	v_div_fixup_f32 v8, v9, v72, v8
	global_store_dword v[0:1], v8, off
	flat_load_dword v8, v[2:3] offset:4
	s_waitcnt vmcnt(0) lgkmcnt(0)
	v_div_scale_f32 v9, s[6:7], v72, v72, v8
	v_rcp_f32_e32 v11, v9
	v_div_scale_f32 v10, vcc, v8, v72, v8
	v_fma_f32 v12, -v9, v11, 1.0
	v_fmac_f32_e32 v11, v12, v11
	v_mul_f32_e32 v12, v10, v11
	v_fma_f32 v13, -v9, v12, v10
	v_fmac_f32_e32 v12, v13, v11
	v_fma_f32 v9, -v9, v12, v10
	v_div_fmas_f32 v9, v9, v11, v12
	v_div_fixup_f32 v8, v9, v72, v8
	global_store_dword v[0:1], v8, off offset:4
	flat_load_dword v8, v[2:3] offset:8
	s_waitcnt vmcnt(0) lgkmcnt(0)
	v_div_scale_f32 v9, s[6:7], v72, v72, v8
	v_rcp_f32_e32 v11, v9
	v_div_scale_f32 v10, vcc, v8, v72, v8
	v_fma_f32 v12, -v9, v11, 1.0
	v_fmac_f32_e32 v11, v12, v11
	v_mul_f32_e32 v12, v10, v11
	v_fma_f32 v13, -v9, v12, v10
	v_fmac_f32_e32 v12, v13, v11
	v_fma_f32 v9, -v9, v12, v10
	v_div_fmas_f32 v9, v9, v11, v12
	v_div_fixup_f32 v8, v9, v72, v8
	global_store_dword v[0:1], v8, off offset:8
	;; [unrolled: 14-line block ×7, first 2 shown]
	s_cbranch_scc1 .LBB1_220
.LBB1_221:
	s_and_b32 s0, s76, 7
	s_mov_b32 s1, 0
	s_cmp_eq_u64 s[0:1], 0
	s_cbranch_scc1 .LBB1_224
; %bb.222:
	s_mov_b64 s[4:5], s[0:1]
.LBB1_223:                              ; =>This Inner Loop Header: Depth=1
	s_lshl_b64 s[6:7], s[2:3], 2
	v_mov_b32_e32 v2, s7
	v_add_co_u32_e32 v0, vcc, s6, v6
	v_addc_co_u32_e32 v1, vcc, v7, v2, vcc
	flat_load_dword v3, v[0:1]
	v_add_co_u32_e32 v0, vcc, s6, v4
	v_addc_co_u32_e32 v1, vcc, v5, v2, vcc
	s_add_i32 s0, s2, 1
	s_add_u32 s4, s4, -1
	s_addc_u32 s5, s5, -1
	s_mov_b64 s[2:3], s[0:1]
	s_cmp_lg_u64 s[4:5], 0
	s_waitcnt vmcnt(0) lgkmcnt(0)
	v_div_scale_f32 v2, s[6:7], v72, v72, v3
	v_rcp_f32_e32 v8, v2
	v_div_scale_f32 v9, vcc, v3, v72, v3
	v_fma_f32 v10, -v2, v8, 1.0
	v_fmac_f32_e32 v8, v10, v8
	v_mul_f32_e32 v10, v9, v8
	v_fma_f32 v11, -v2, v10, v9
	v_fmac_f32_e32 v10, v11, v8
	v_fma_f32 v2, -v2, v10, v9
	v_div_fmas_f32 v2, v2, v8, v10
	v_div_fixup_f32 v2, v2, v72, v3
	global_store_dword v[0:1], v2, off
	s_cbranch_scc1 .LBB1_223
.LBB1_224:
	s_endpgm
	.section	.rodata,"a",@progbits
	.p2align	6, 0x0
	.amdhsa_kernel _Z21moe_fused_gate_kernelItLi32ELi256ELi8ELi1EEvPvS0_PfPilllldi
		.amdhsa_group_segment_fixed_size 0
		.amdhsa_private_segment_fixed_size 0
		.amdhsa_kernarg_size 76
		.amdhsa_user_sgpr_count 6
		.amdhsa_user_sgpr_private_segment_buffer 1
		.amdhsa_user_sgpr_dispatch_ptr 0
		.amdhsa_user_sgpr_queue_ptr 0
		.amdhsa_user_sgpr_kernarg_segment_ptr 1
		.amdhsa_user_sgpr_dispatch_id 0
		.amdhsa_user_sgpr_flat_scratch_init 0
		.amdhsa_user_sgpr_kernarg_preload_length 0
		.amdhsa_user_sgpr_kernarg_preload_offset 0
		.amdhsa_user_sgpr_private_segment_size 0
		.amdhsa_uses_dynamic_stack 0
		.amdhsa_system_sgpr_private_segment_wavefront_offset 0
		.amdhsa_system_sgpr_workgroup_id_x 1
		.amdhsa_system_sgpr_workgroup_id_y 0
		.amdhsa_system_sgpr_workgroup_id_z 0
		.amdhsa_system_sgpr_workgroup_info 0
		.amdhsa_system_vgpr_workitem_id 1
		.amdhsa_next_free_vgpr 82
		.amdhsa_next_free_sgpr 85
		.amdhsa_accum_offset 84
		.amdhsa_reserve_vcc 1
		.amdhsa_reserve_flat_scratch 0
		.amdhsa_float_round_mode_32 0
		.amdhsa_float_round_mode_16_64 0
		.amdhsa_float_denorm_mode_32 3
		.amdhsa_float_denorm_mode_16_64 3
		.amdhsa_dx10_clamp 1
		.amdhsa_ieee_mode 1
		.amdhsa_fp16_overflow 0
		.amdhsa_tg_split 0
		.amdhsa_exception_fp_ieee_invalid_op 0
		.amdhsa_exception_fp_denorm_src 0
		.amdhsa_exception_fp_ieee_div_zero 0
		.amdhsa_exception_fp_ieee_overflow 0
		.amdhsa_exception_fp_ieee_underflow 0
		.amdhsa_exception_fp_ieee_inexact 0
		.amdhsa_exception_int_div_zero 0
	.end_amdhsa_kernel
	.section	.text._Z21moe_fused_gate_kernelItLi32ELi256ELi8ELi1EEvPvS0_PfPilllldi,"axG",@progbits,_Z21moe_fused_gate_kernelItLi32ELi256ELi8ELi1EEvPvS0_PfPilllldi,comdat
.Lfunc_end1:
	.size	_Z21moe_fused_gate_kernelItLi32ELi256ELi8ELi1EEvPvS0_PfPilllldi, .Lfunc_end1-_Z21moe_fused_gate_kernelItLi32ELi256ELi8ELi1EEvPvS0_PfPilllldi
                                        ; -- End function
	.section	.AMDGPU.csdata,"",@progbits
; Kernel info:
; codeLenInByte = 12240
; NumSgprs: 89
; NumVgprs: 82
; NumAgprs: 0
; TotalNumVgprs: 82
; ScratchSize: 0
; MemoryBound: 1
; FloatMode: 240
; IeeeMode: 1
; LDSByteSize: 0 bytes/workgroup (compile time only)
; SGPRBlocks: 11
; VGPRBlocks: 10
; NumSGPRsForWavesPerEU: 89
; NumVGPRsForWavesPerEU: 82
; AccumOffset: 84
; Occupancy: 5
; WaveLimiterHint : 0
; COMPUTE_PGM_RSRC2:SCRATCH_EN: 0
; COMPUTE_PGM_RSRC2:USER_SGPR: 6
; COMPUTE_PGM_RSRC2:TRAP_HANDLER: 0
; COMPUTE_PGM_RSRC2:TGID_X_EN: 1
; COMPUTE_PGM_RSRC2:TGID_Y_EN: 0
; COMPUTE_PGM_RSRC2:TGID_Z_EN: 0
; COMPUTE_PGM_RSRC2:TIDIG_COMP_CNT: 1
; COMPUTE_PGM_RSRC3_GFX90A:ACCUM_OFFSET: 20
; COMPUTE_PGM_RSRC3_GFX90A:TG_SPLIT: 0
	.section	.text._Z21moe_fused_gate_kernelIDF16_Li32ELi256ELi8ELi1EEvPvS0_PfPilllldi,"axG",@progbits,_Z21moe_fused_gate_kernelIDF16_Li32ELi256ELi8ELi1EEvPvS0_PfPilllldi,comdat
	.protected	_Z21moe_fused_gate_kernelIDF16_Li32ELi256ELi8ELi1EEvPvS0_PfPilllldi ; -- Begin function _Z21moe_fused_gate_kernelIDF16_Li32ELi256ELi8ELi1EEvPvS0_PfPilllldi
	.globl	_Z21moe_fused_gate_kernelIDF16_Li32ELi256ELi8ELi1EEvPvS0_PfPilllldi
	.p2align	8
	.type	_Z21moe_fused_gate_kernelIDF16_Li32ELi256ELi8ELi1EEvPvS0_PfPilllldi,@function
_Z21moe_fused_gate_kernelIDF16_Li32ELi256ELi8ELi1EEvPvS0_PfPilllldi: ; @_Z21moe_fused_gate_kernelIDF16_Li32ELi256ELi8ELi1EEvPvS0_PfPilllldi
; %bb.0:
	s_load_dwordx16 s[64:79], s[4:5], 0x0
	v_and_b32_e32 v1, 0x3ff, v0
	v_bfe_u32 v0, v0, 10, 10
	v_add_u32_e32 v0, s6, v0
	v_lshrrev_b32_e32 v64, 3, v1
	v_mov_b32_e32 v69, 0
	v_lshl_add_u32 v32, v0, 3, v64
	v_mov_b32_e32 v33, v69
	s_waitcnt lgkmcnt(0)
	v_cmp_gt_i64_e32 vcc, s[72:73], v[32:33]
	s_and_saveexec_b64 s[0:1], vcc
	s_cbranch_execz .LBB2_224
; %bb.1:
	v_lshlrev_b64 v[2:3], 9, v[32:33]
	v_mov_b32_e32 v0, s65
	v_add_co_u32_e32 v2, vcc, s64, v2
	v_and_b32_e32 v68, 7, v1
	v_addc_co_u32_e32 v0, vcc, v0, v3, vcc
	v_lshlrev_b32_e32 v36, 6, v68
	v_add_co_u32_e32 v34, vcc, v2, v36
	v_addc_co_u32_e32 v35, vcc, 0, v0, vcc
	global_load_dwordx4 v[16:19], v[34:35], off offset:48
	global_load_dwordx4 v[20:23], v[34:35], off offset:32
	;; [unrolled: 1-line block ×3, first 2 shown]
	global_load_dwordx4 v[28:31], v[34:35], off
	global_load_dwordx4 v[0:3], v36, s[66:67] offset:48
	global_load_dwordx4 v[4:7], v36, s[66:67] offset:32
	;; [unrolled: 1-line block ×3, first 2 shown]
	global_load_dwordx4 v[12:15], v36, s[66:67]
	s_waitcnt vmcnt(4)
	v_cmp_o_f16_e32 vcc, v28, v28
	s_and_saveexec_b64 s[0:1], vcc
	s_cbranch_execz .LBB2_3
; %bb.2:
	v_cvt_f32_f16_e64 v34, -v28
	s_mov_b32 s2, 0x3fb8aa3b
	s_mov_b32 s3, 0x32a5705f
	v_mul_f32_e32 v35, 0x3fb8aa3b, v34
	v_rndne_f32_e32 v36, v35
	v_fma_mix_f32 v37, -v28, s2, -v35 op_sel_hi:[1,0,0]
	v_sub_f32_e32 v35, v35, v36
	v_fma_mix_f32 v37, -v28, s3, v37 op_sel_hi:[1,0,0]
	v_add_f32_e32 v35, v35, v37
	v_cvt_i32_f32_e32 v36, v36
	v_exp_f32_e32 v35, v35
	s_mov_b32 s2, 0xc2ce8ed0
	v_cmp_ngt_f32_e32 vcc, s2, v34
	s_mov_b32 s2, 0x42b17218
	v_ldexp_f32 v35, v35, v36
	v_cndmask_b32_e32 v35, 0, v35, vcc
	v_mov_b32_e32 v36, 0x7f800000
	v_cmp_nlt_f32_e32 vcc, s2, v34
	v_cndmask_b32_e32 v34, v36, v35, vcc
	v_add_f32_e32 v34, 1.0, v34
	v_div_scale_f32 v35, s[2:3], v34, v34, 1.0
	v_rcp_f32_e32 v36, v35
	v_fma_f32 v37, -v35, v36, 1.0
	v_fmac_f32_e32 v36, v37, v36
	v_div_scale_f32 v37, vcc, 1.0, v34, 1.0
	v_mul_f32_e32 v38, v37, v36
	v_fma_f32 v39, -v35, v38, v37
	v_fmac_f32_e32 v38, v39, v36
	v_fma_f32 v35, -v35, v38, v37
	v_div_fmas_f32 v35, v35, v36, v38
	v_div_fixup_f32 v69, v35, v34, 1.0
.LBB2_3:
	s_or_b64 exec, exec, s[0:1]
	v_lshrrev_b32_e32 v34, 16, v28
	v_cmp_o_f16_e32 vcc, v34, v34
	v_mov_b32_e32 v28, 0
	v_mov_b32_e32 v70, 0
	s_and_saveexec_b64 s[0:1], vcc
	s_cbranch_execz .LBB2_5
; %bb.4:
	v_cvt_f32_f16_e64 v35, -v34
	s_mov_b32 s2, 0x3fb8aa3b
	s_mov_b32 s3, 0x32a5705f
	v_mul_f32_e32 v36, 0x3fb8aa3b, v35
	v_rndne_f32_e32 v37, v36
	v_fma_mix_f32 v38, -v34, s2, -v36 op_sel_hi:[1,0,0]
	v_sub_f32_e32 v36, v36, v37
	v_fma_mix_f32 v34, -v34, s3, v38 op_sel_hi:[1,0,0]
	v_add_f32_e32 v34, v36, v34
	v_cvt_i32_f32_e32 v36, v37
	v_exp_f32_e32 v34, v34
	s_mov_b32 s2, 0xc2ce8ed0
	v_cmp_ngt_f32_e32 vcc, s2, v35
	s_mov_b32 s2, 0x42b17218
	v_ldexp_f32 v34, v34, v36
	v_cndmask_b32_e32 v34, 0, v34, vcc
	v_mov_b32_e32 v36, 0x7f800000
	v_cmp_nlt_f32_e32 vcc, s2, v35
	v_cndmask_b32_e32 v34, v36, v34, vcc
	v_add_f32_e32 v34, 1.0, v34
	v_div_scale_f32 v35, s[2:3], v34, v34, 1.0
	v_rcp_f32_e32 v36, v35
	v_fma_f32 v37, -v35, v36, 1.0
	v_fmac_f32_e32 v36, v37, v36
	v_div_scale_f32 v37, vcc, 1.0, v34, 1.0
	v_mul_f32_e32 v38, v37, v36
	v_fma_f32 v39, -v35, v38, v37
	v_fmac_f32_e32 v38, v39, v36
	v_fma_f32 v35, -v35, v38, v37
	v_div_fmas_f32 v35, v35, v36, v38
	v_div_fixup_f32 v70, v35, v34, 1.0
.LBB2_5:
	s_or_b64 exec, exec, s[0:1]
	v_cmp_o_f16_e32 vcc, v29, v29
	s_and_saveexec_b64 s[0:1], vcc
	s_cbranch_execz .LBB2_7
; %bb.6:
	v_cvt_f32_f16_e64 v28, -v29
	s_mov_b32 s2, 0x3fb8aa3b
	s_mov_b32 s3, 0x32a5705f
	v_mul_f32_e32 v34, 0x3fb8aa3b, v28
	v_rndne_f32_e32 v35, v34
	v_fma_mix_f32 v36, -v29, s2, -v34 op_sel_hi:[1,0,0]
	v_sub_f32_e32 v34, v34, v35
	v_fma_mix_f32 v36, -v29, s3, v36 op_sel_hi:[1,0,0]
	v_add_f32_e32 v34, v34, v36
	v_cvt_i32_f32_e32 v35, v35
	v_exp_f32_e32 v34, v34
	s_mov_b32 s2, 0xc2ce8ed0
	v_cmp_ngt_f32_e32 vcc, s2, v28
	s_mov_b32 s2, 0x42b17218
	v_ldexp_f32 v34, v34, v35
	v_cndmask_b32_e32 v34, 0, v34, vcc
	v_mov_b32_e32 v35, 0x7f800000
	v_cmp_nlt_f32_e32 vcc, s2, v28
	v_cndmask_b32_e32 v28, v35, v34, vcc
	v_add_f32_e32 v28, 1.0, v28
	v_div_scale_f32 v34, s[2:3], v28, v28, 1.0
	v_rcp_f32_e32 v35, v34
	v_fma_f32 v36, -v34, v35, 1.0
	v_fmac_f32_e32 v35, v36, v35
	v_div_scale_f32 v36, vcc, 1.0, v28, 1.0
	v_mul_f32_e32 v37, v36, v35
	v_fma_f32 v38, -v34, v37, v36
	v_fmac_f32_e32 v37, v38, v35
	v_fma_f32 v34, -v34, v37, v36
	v_div_fmas_f32 v34, v34, v35, v37
	v_div_fixup_f32 v28, v34, v28, 1.0
.LBB2_7:
	s_or_b64 exec, exec, s[0:1]
	v_lshrrev_b32_e32 v35, 16, v29
	v_cmp_o_f16_e32 vcc, v35, v35
	v_mov_b32_e32 v34, 0
	v_mov_b32_e32 v29, 0
	s_and_saveexec_b64 s[0:1], vcc
	s_cbranch_execz .LBB2_9
; %bb.8:
	v_cvt_f32_f16_e64 v29, -v35
	s_mov_b32 s2, 0x3fb8aa3b
	s_mov_b32 s3, 0x32a5705f
	v_mul_f32_e32 v36, 0x3fb8aa3b, v29
	v_rndne_f32_e32 v37, v36
	v_fma_mix_f32 v38, -v35, s2, -v36 op_sel_hi:[1,0,0]
	v_sub_f32_e32 v36, v36, v37
	v_fma_mix_f32 v35, -v35, s3, v38 op_sel_hi:[1,0,0]
	v_add_f32_e32 v35, v36, v35
	v_cvt_i32_f32_e32 v36, v37
	v_exp_f32_e32 v35, v35
	s_mov_b32 s2, 0xc2ce8ed0
	v_cmp_ngt_f32_e32 vcc, s2, v29
	s_mov_b32 s2, 0x42b17218
	v_ldexp_f32 v35, v35, v36
	v_cndmask_b32_e32 v35, 0, v35, vcc
	v_mov_b32_e32 v36, 0x7f800000
	v_cmp_nlt_f32_e32 vcc, s2, v29
	v_cndmask_b32_e32 v29, v36, v35, vcc
	v_add_f32_e32 v29, 1.0, v29
	v_div_scale_f32 v35, s[2:3], v29, v29, 1.0
	v_rcp_f32_e32 v36, v35
	v_fma_f32 v37, -v35, v36, 1.0
	v_fmac_f32_e32 v36, v37, v36
	v_div_scale_f32 v37, vcc, 1.0, v29, 1.0
	v_mul_f32_e32 v38, v37, v36
	v_fma_f32 v39, -v35, v38, v37
	v_fmac_f32_e32 v38, v39, v36
	v_fma_f32 v35, -v35, v38, v37
	v_div_fmas_f32 v35, v35, v36, v38
	v_div_fixup_f32 v29, v35, v29, 1.0
.LBB2_9:
	s_or_b64 exec, exec, s[0:1]
	v_cmp_o_f16_e32 vcc, v30, v30
	s_and_saveexec_b64 s[0:1], vcc
	s_cbranch_execz .LBB2_11
; %bb.10:
	v_cvt_f32_f16_e64 v34, -v30
	s_mov_b32 s2, 0x3fb8aa3b
	s_mov_b32 s3, 0x32a5705f
	v_mul_f32_e32 v35, 0x3fb8aa3b, v34
	v_rndne_f32_e32 v36, v35
	v_fma_mix_f32 v37, -v30, s2, -v35 op_sel_hi:[1,0,0]
	v_sub_f32_e32 v35, v35, v36
	v_fma_mix_f32 v37, -v30, s3, v37 op_sel_hi:[1,0,0]
	v_add_f32_e32 v35, v35, v37
	v_cvt_i32_f32_e32 v36, v36
	v_exp_f32_e32 v35, v35
	s_mov_b32 s2, 0xc2ce8ed0
	v_cmp_ngt_f32_e32 vcc, s2, v34
	s_mov_b32 s2, 0x42b17218
	v_ldexp_f32 v35, v35, v36
	v_cndmask_b32_e32 v35, 0, v35, vcc
	v_mov_b32_e32 v36, 0x7f800000
	v_cmp_nlt_f32_e32 vcc, s2, v34
	v_cndmask_b32_e32 v34, v36, v35, vcc
	v_add_f32_e32 v34, 1.0, v34
	v_div_scale_f32 v35, s[2:3], v34, v34, 1.0
	v_rcp_f32_e32 v36, v35
	v_fma_f32 v37, -v35, v36, 1.0
	v_fmac_f32_e32 v36, v37, v36
	v_div_scale_f32 v37, vcc, 1.0, v34, 1.0
	v_mul_f32_e32 v38, v37, v36
	v_fma_f32 v39, -v35, v38, v37
	v_fmac_f32_e32 v38, v39, v36
	v_fma_f32 v35, -v35, v38, v37
	v_div_fmas_f32 v35, v35, v36, v38
	v_div_fixup_f32 v34, v35, v34, 1.0
.LBB2_11:
	s_or_b64 exec, exec, s[0:1]
	v_lshrrev_b32_e32 v36, 16, v30
	v_cmp_o_f16_e32 vcc, v36, v36
	v_mov_b32_e32 v30, 0
	v_mov_b32_e32 v35, 0
	s_and_saveexec_b64 s[0:1], vcc
	s_cbranch_execz .LBB2_13
; %bb.12:
	v_cvt_f32_f16_e64 v35, -v36
	s_mov_b32 s2, 0x3fb8aa3b
	s_mov_b32 s3, 0x32a5705f
	v_mul_f32_e32 v37, 0x3fb8aa3b, v35
	v_rndne_f32_e32 v38, v37
	v_fma_mix_f32 v39, -v36, s2, -v37 op_sel_hi:[1,0,0]
	v_sub_f32_e32 v37, v37, v38
	v_fma_mix_f32 v36, -v36, s3, v39 op_sel_hi:[1,0,0]
	v_add_f32_e32 v36, v37, v36
	v_cvt_i32_f32_e32 v37, v38
	v_exp_f32_e32 v36, v36
	s_mov_b32 s2, 0xc2ce8ed0
	v_cmp_ngt_f32_e32 vcc, s2, v35
	s_mov_b32 s2, 0x42b17218
	v_ldexp_f32 v36, v36, v37
	v_cndmask_b32_e32 v36, 0, v36, vcc
	v_mov_b32_e32 v37, 0x7f800000
	v_cmp_nlt_f32_e32 vcc, s2, v35
	v_cndmask_b32_e32 v35, v37, v36, vcc
	v_add_f32_e32 v35, 1.0, v35
	v_div_scale_f32 v36, s[2:3], v35, v35, 1.0
	v_rcp_f32_e32 v37, v36
	v_fma_f32 v38, -v36, v37, 1.0
	v_fmac_f32_e32 v37, v38, v37
	v_div_scale_f32 v38, vcc, 1.0, v35, 1.0
	v_mul_f32_e32 v39, v38, v37
	v_fma_f32 v40, -v36, v39, v38
	v_fmac_f32_e32 v39, v40, v37
	v_fma_f32 v36, -v36, v39, v38
	v_div_fmas_f32 v36, v36, v37, v39
	v_div_fixup_f32 v35, v36, v35, 1.0
.LBB2_13:
	s_or_b64 exec, exec, s[0:1]
	v_cmp_o_f16_e32 vcc, v31, v31
	s_and_saveexec_b64 s[0:1], vcc
	s_cbranch_execz .LBB2_15
; %bb.14:
	v_cvt_f32_f16_e64 v30, -v31
	s_mov_b32 s2, 0x3fb8aa3b
	s_mov_b32 s3, 0x32a5705f
	v_mul_f32_e32 v36, 0x3fb8aa3b, v30
	v_rndne_f32_e32 v37, v36
	v_fma_mix_f32 v38, -v31, s2, -v36 op_sel_hi:[1,0,0]
	v_sub_f32_e32 v36, v36, v37
	v_fma_mix_f32 v38, -v31, s3, v38 op_sel_hi:[1,0,0]
	v_add_f32_e32 v36, v36, v38
	v_cvt_i32_f32_e32 v37, v37
	v_exp_f32_e32 v36, v36
	s_mov_b32 s2, 0xc2ce8ed0
	v_cmp_ngt_f32_e32 vcc, s2, v30
	s_mov_b32 s2, 0x42b17218
	v_ldexp_f32 v36, v36, v37
	v_cndmask_b32_e32 v36, 0, v36, vcc
	v_mov_b32_e32 v37, 0x7f800000
	v_cmp_nlt_f32_e32 vcc, s2, v30
	v_cndmask_b32_e32 v30, v37, v36, vcc
	v_add_f32_e32 v30, 1.0, v30
	v_div_scale_f32 v36, s[2:3], v30, v30, 1.0
	v_rcp_f32_e32 v37, v36
	v_fma_f32 v38, -v36, v37, 1.0
	v_fmac_f32_e32 v37, v38, v37
	v_div_scale_f32 v38, vcc, 1.0, v30, 1.0
	v_mul_f32_e32 v39, v38, v37
	v_fma_f32 v40, -v36, v39, v38
	v_fmac_f32_e32 v39, v40, v37
	v_fma_f32 v36, -v36, v39, v38
	v_div_fmas_f32 v36, v36, v37, v39
	v_div_fixup_f32 v30, v36, v30, 1.0
.LBB2_15:
	s_or_b64 exec, exec, s[0:1]
	v_lshrrev_b32_e32 v37, 16, v31
	v_cmp_o_f16_e32 vcc, v37, v37
	v_mov_b32_e32 v36, 0
	v_mov_b32_e32 v31, 0
	s_and_saveexec_b64 s[0:1], vcc
	s_cbranch_execz .LBB2_17
; %bb.16:
	v_cvt_f32_f16_e64 v31, -v37
	s_mov_b32 s2, 0x3fb8aa3b
	s_mov_b32 s3, 0x32a5705f
	v_mul_f32_e32 v38, 0x3fb8aa3b, v31
	v_rndne_f32_e32 v39, v38
	v_fma_mix_f32 v40, -v37, s2, -v38 op_sel_hi:[1,0,0]
	v_sub_f32_e32 v38, v38, v39
	v_fma_mix_f32 v37, -v37, s3, v40 op_sel_hi:[1,0,0]
	v_add_f32_e32 v37, v38, v37
	v_cvt_i32_f32_e32 v38, v39
	v_exp_f32_e32 v37, v37
	s_mov_b32 s2, 0xc2ce8ed0
	v_cmp_ngt_f32_e32 vcc, s2, v31
	s_mov_b32 s2, 0x42b17218
	v_ldexp_f32 v37, v37, v38
	v_cndmask_b32_e32 v37, 0, v37, vcc
	v_mov_b32_e32 v38, 0x7f800000
	v_cmp_nlt_f32_e32 vcc, s2, v31
	v_cndmask_b32_e32 v31, v38, v37, vcc
	v_add_f32_e32 v31, 1.0, v31
	v_div_scale_f32 v37, s[2:3], v31, v31, 1.0
	v_rcp_f32_e32 v38, v37
	v_fma_f32 v39, -v37, v38, 1.0
	v_fmac_f32_e32 v38, v39, v38
	v_div_scale_f32 v39, vcc, 1.0, v31, 1.0
	v_mul_f32_e32 v40, v39, v38
	v_fma_f32 v41, -v37, v40, v39
	v_fmac_f32_e32 v40, v41, v38
	v_fma_f32 v37, -v37, v40, v39
	v_div_fmas_f32 v37, v37, v38, v40
	v_div_fixup_f32 v31, v37, v31, 1.0
.LBB2_17:
	s_or_b64 exec, exec, s[0:1]
	v_cmp_o_f16_e32 vcc, v24, v24
	s_and_saveexec_b64 s[0:1], vcc
	s_cbranch_execz .LBB2_19
; %bb.18:
	v_cvt_f32_f16_e64 v36, -v24
	s_mov_b32 s2, 0x3fb8aa3b
	s_mov_b32 s3, 0x32a5705f
	v_mul_f32_e32 v37, 0x3fb8aa3b, v36
	v_rndne_f32_e32 v38, v37
	v_fma_mix_f32 v39, -v24, s2, -v37 op_sel_hi:[1,0,0]
	v_sub_f32_e32 v37, v37, v38
	v_fma_mix_f32 v39, -v24, s3, v39 op_sel_hi:[1,0,0]
	v_add_f32_e32 v37, v37, v39
	v_cvt_i32_f32_e32 v38, v38
	v_exp_f32_e32 v37, v37
	s_mov_b32 s2, 0xc2ce8ed0
	v_cmp_ngt_f32_e32 vcc, s2, v36
	s_mov_b32 s2, 0x42b17218
	v_ldexp_f32 v37, v37, v38
	v_cndmask_b32_e32 v37, 0, v37, vcc
	v_mov_b32_e32 v38, 0x7f800000
	v_cmp_nlt_f32_e32 vcc, s2, v36
	v_cndmask_b32_e32 v36, v38, v37, vcc
	v_add_f32_e32 v36, 1.0, v36
	v_div_scale_f32 v37, s[2:3], v36, v36, 1.0
	v_rcp_f32_e32 v38, v37
	v_fma_f32 v39, -v37, v38, 1.0
	v_fmac_f32_e32 v38, v39, v38
	v_div_scale_f32 v39, vcc, 1.0, v36, 1.0
	v_mul_f32_e32 v40, v39, v38
	v_fma_f32 v41, -v37, v40, v39
	v_fmac_f32_e32 v40, v41, v38
	v_fma_f32 v37, -v37, v40, v39
	v_div_fmas_f32 v37, v37, v38, v40
	v_div_fixup_f32 v36, v37, v36, 1.0
.LBB2_19:
	s_or_b64 exec, exec, s[0:1]
	v_lshrrev_b32_e32 v38, 16, v24
	v_cmp_o_f16_e32 vcc, v38, v38
	v_mov_b32_e32 v24, 0
	v_mov_b32_e32 v37, 0
	s_and_saveexec_b64 s[0:1], vcc
	s_cbranch_execz .LBB2_21
; %bb.20:
	v_cvt_f32_f16_e64 v37, -v38
	s_mov_b32 s2, 0x3fb8aa3b
	s_mov_b32 s3, 0x32a5705f
	v_mul_f32_e32 v39, 0x3fb8aa3b, v37
	v_rndne_f32_e32 v40, v39
	v_fma_mix_f32 v41, -v38, s2, -v39 op_sel_hi:[1,0,0]
	v_sub_f32_e32 v39, v39, v40
	v_fma_mix_f32 v38, -v38, s3, v41 op_sel_hi:[1,0,0]
	v_add_f32_e32 v38, v39, v38
	v_cvt_i32_f32_e32 v39, v40
	v_exp_f32_e32 v38, v38
	s_mov_b32 s2, 0xc2ce8ed0
	v_cmp_ngt_f32_e32 vcc, s2, v37
	s_mov_b32 s2, 0x42b17218
	v_ldexp_f32 v38, v38, v39
	v_cndmask_b32_e32 v38, 0, v38, vcc
	v_mov_b32_e32 v39, 0x7f800000
	v_cmp_nlt_f32_e32 vcc, s2, v37
	v_cndmask_b32_e32 v37, v39, v38, vcc
	v_add_f32_e32 v37, 1.0, v37
	v_div_scale_f32 v38, s[2:3], v37, v37, 1.0
	v_rcp_f32_e32 v39, v38
	v_fma_f32 v40, -v38, v39, 1.0
	v_fmac_f32_e32 v39, v40, v39
	v_div_scale_f32 v40, vcc, 1.0, v37, 1.0
	v_mul_f32_e32 v41, v40, v39
	v_fma_f32 v42, -v38, v41, v40
	v_fmac_f32_e32 v41, v42, v39
	v_fma_f32 v38, -v38, v41, v40
	v_div_fmas_f32 v38, v38, v39, v41
	v_div_fixup_f32 v37, v38, v37, 1.0
.LBB2_21:
	s_or_b64 exec, exec, s[0:1]
	v_cmp_o_f16_e32 vcc, v25, v25
	s_and_saveexec_b64 s[0:1], vcc
	s_cbranch_execz .LBB2_23
; %bb.22:
	v_cvt_f32_f16_e64 v24, -v25
	s_mov_b32 s2, 0x3fb8aa3b
	s_mov_b32 s3, 0x32a5705f
	v_mul_f32_e32 v38, 0x3fb8aa3b, v24
	v_rndne_f32_e32 v39, v38
	v_fma_mix_f32 v40, -v25, s2, -v38 op_sel_hi:[1,0,0]
	v_sub_f32_e32 v38, v38, v39
	v_fma_mix_f32 v40, -v25, s3, v40 op_sel_hi:[1,0,0]
	v_add_f32_e32 v38, v38, v40
	v_cvt_i32_f32_e32 v39, v39
	v_exp_f32_e32 v38, v38
	s_mov_b32 s2, 0xc2ce8ed0
	v_cmp_ngt_f32_e32 vcc, s2, v24
	s_mov_b32 s2, 0x42b17218
	v_ldexp_f32 v38, v38, v39
	v_cndmask_b32_e32 v38, 0, v38, vcc
	v_mov_b32_e32 v39, 0x7f800000
	v_cmp_nlt_f32_e32 vcc, s2, v24
	v_cndmask_b32_e32 v24, v39, v38, vcc
	v_add_f32_e32 v24, 1.0, v24
	v_div_scale_f32 v38, s[2:3], v24, v24, 1.0
	v_rcp_f32_e32 v39, v38
	v_fma_f32 v40, -v38, v39, 1.0
	v_fmac_f32_e32 v39, v40, v39
	v_div_scale_f32 v40, vcc, 1.0, v24, 1.0
	v_mul_f32_e32 v41, v40, v39
	v_fma_f32 v42, -v38, v41, v40
	v_fmac_f32_e32 v41, v42, v39
	v_fma_f32 v38, -v38, v41, v40
	v_div_fmas_f32 v38, v38, v39, v41
	v_div_fixup_f32 v24, v38, v24, 1.0
.LBB2_23:
	s_or_b64 exec, exec, s[0:1]
	v_lshrrev_b32_e32 v39, 16, v25
	v_cmp_o_f16_e32 vcc, v39, v39
	v_mov_b32_e32 v38, 0
	v_mov_b32_e32 v25, 0
	s_and_saveexec_b64 s[0:1], vcc
	s_cbranch_execz .LBB2_25
; %bb.24:
	v_cvt_f32_f16_e64 v25, -v39
	s_mov_b32 s2, 0x3fb8aa3b
	s_mov_b32 s3, 0x32a5705f
	v_mul_f32_e32 v40, 0x3fb8aa3b, v25
	v_rndne_f32_e32 v41, v40
	v_fma_mix_f32 v42, -v39, s2, -v40 op_sel_hi:[1,0,0]
	v_sub_f32_e32 v40, v40, v41
	v_fma_mix_f32 v39, -v39, s3, v42 op_sel_hi:[1,0,0]
	v_add_f32_e32 v39, v40, v39
	v_cvt_i32_f32_e32 v40, v41
	v_exp_f32_e32 v39, v39
	s_mov_b32 s2, 0xc2ce8ed0
	v_cmp_ngt_f32_e32 vcc, s2, v25
	s_mov_b32 s2, 0x42b17218
	v_ldexp_f32 v39, v39, v40
	v_cndmask_b32_e32 v39, 0, v39, vcc
	v_mov_b32_e32 v40, 0x7f800000
	v_cmp_nlt_f32_e32 vcc, s2, v25
	v_cndmask_b32_e32 v25, v40, v39, vcc
	v_add_f32_e32 v25, 1.0, v25
	v_div_scale_f32 v39, s[2:3], v25, v25, 1.0
	v_rcp_f32_e32 v40, v39
	v_fma_f32 v41, -v39, v40, 1.0
	v_fmac_f32_e32 v40, v41, v40
	v_div_scale_f32 v41, vcc, 1.0, v25, 1.0
	v_mul_f32_e32 v42, v41, v40
	v_fma_f32 v43, -v39, v42, v41
	v_fmac_f32_e32 v42, v43, v40
	v_fma_f32 v39, -v39, v42, v41
	v_div_fmas_f32 v39, v39, v40, v42
	v_div_fixup_f32 v25, v39, v25, 1.0
.LBB2_25:
	s_or_b64 exec, exec, s[0:1]
	v_cmp_o_f16_e32 vcc, v26, v26
	s_and_saveexec_b64 s[0:1], vcc
	s_cbranch_execz .LBB2_27
; %bb.26:
	v_cvt_f32_f16_e64 v38, -v26
	s_mov_b32 s2, 0x3fb8aa3b
	s_mov_b32 s3, 0x32a5705f
	v_mul_f32_e32 v39, 0x3fb8aa3b, v38
	v_rndne_f32_e32 v40, v39
	v_fma_mix_f32 v41, -v26, s2, -v39 op_sel_hi:[1,0,0]
	v_sub_f32_e32 v39, v39, v40
	v_fma_mix_f32 v41, -v26, s3, v41 op_sel_hi:[1,0,0]
	v_add_f32_e32 v39, v39, v41
	v_cvt_i32_f32_e32 v40, v40
	v_exp_f32_e32 v39, v39
	s_mov_b32 s2, 0xc2ce8ed0
	v_cmp_ngt_f32_e32 vcc, s2, v38
	s_mov_b32 s2, 0x42b17218
	v_ldexp_f32 v39, v39, v40
	v_cndmask_b32_e32 v39, 0, v39, vcc
	v_mov_b32_e32 v40, 0x7f800000
	v_cmp_nlt_f32_e32 vcc, s2, v38
	v_cndmask_b32_e32 v38, v40, v39, vcc
	v_add_f32_e32 v38, 1.0, v38
	v_div_scale_f32 v39, s[2:3], v38, v38, 1.0
	v_rcp_f32_e32 v40, v39
	v_fma_f32 v41, -v39, v40, 1.0
	v_fmac_f32_e32 v40, v41, v40
	v_div_scale_f32 v41, vcc, 1.0, v38, 1.0
	v_mul_f32_e32 v42, v41, v40
	v_fma_f32 v43, -v39, v42, v41
	v_fmac_f32_e32 v42, v43, v40
	v_fma_f32 v39, -v39, v42, v41
	v_div_fmas_f32 v39, v39, v40, v42
	v_div_fixup_f32 v38, v39, v38, 1.0
.LBB2_27:
	s_or_b64 exec, exec, s[0:1]
	v_lshrrev_b32_e32 v40, 16, v26
	v_cmp_o_f16_e32 vcc, v40, v40
	v_mov_b32_e32 v26, 0
	v_mov_b32_e32 v39, 0
	s_and_saveexec_b64 s[0:1], vcc
	s_cbranch_execz .LBB2_29
; %bb.28:
	v_cvt_f32_f16_e64 v39, -v40
	s_mov_b32 s2, 0x3fb8aa3b
	s_mov_b32 s3, 0x32a5705f
	v_mul_f32_e32 v41, 0x3fb8aa3b, v39
	v_rndne_f32_e32 v42, v41
	v_fma_mix_f32 v43, -v40, s2, -v41 op_sel_hi:[1,0,0]
	v_sub_f32_e32 v41, v41, v42
	v_fma_mix_f32 v40, -v40, s3, v43 op_sel_hi:[1,0,0]
	v_add_f32_e32 v40, v41, v40
	v_cvt_i32_f32_e32 v41, v42
	v_exp_f32_e32 v40, v40
	s_mov_b32 s2, 0xc2ce8ed0
	v_cmp_ngt_f32_e32 vcc, s2, v39
	s_mov_b32 s2, 0x42b17218
	v_ldexp_f32 v40, v40, v41
	v_cndmask_b32_e32 v40, 0, v40, vcc
	v_mov_b32_e32 v41, 0x7f800000
	v_cmp_nlt_f32_e32 vcc, s2, v39
	v_cndmask_b32_e32 v39, v41, v40, vcc
	v_add_f32_e32 v39, 1.0, v39
	v_div_scale_f32 v40, s[2:3], v39, v39, 1.0
	v_rcp_f32_e32 v41, v40
	v_fma_f32 v42, -v40, v41, 1.0
	v_fmac_f32_e32 v41, v42, v41
	v_div_scale_f32 v42, vcc, 1.0, v39, 1.0
	v_mul_f32_e32 v43, v42, v41
	v_fma_f32 v44, -v40, v43, v42
	v_fmac_f32_e32 v43, v44, v41
	v_fma_f32 v40, -v40, v43, v42
	v_div_fmas_f32 v40, v40, v41, v43
	v_div_fixup_f32 v39, v40, v39, 1.0
.LBB2_29:
	s_or_b64 exec, exec, s[0:1]
	v_cmp_o_f16_e32 vcc, v27, v27
	s_and_saveexec_b64 s[0:1], vcc
	s_cbranch_execz .LBB2_31
; %bb.30:
	v_cvt_f32_f16_e64 v26, -v27
	s_mov_b32 s2, 0x3fb8aa3b
	s_mov_b32 s3, 0x32a5705f
	v_mul_f32_e32 v40, 0x3fb8aa3b, v26
	v_rndne_f32_e32 v41, v40
	v_fma_mix_f32 v42, -v27, s2, -v40 op_sel_hi:[1,0,0]
	v_sub_f32_e32 v40, v40, v41
	v_fma_mix_f32 v42, -v27, s3, v42 op_sel_hi:[1,0,0]
	v_add_f32_e32 v40, v40, v42
	v_cvt_i32_f32_e32 v41, v41
	v_exp_f32_e32 v40, v40
	s_mov_b32 s2, 0xc2ce8ed0
	v_cmp_ngt_f32_e32 vcc, s2, v26
	s_mov_b32 s2, 0x42b17218
	v_ldexp_f32 v40, v40, v41
	v_cndmask_b32_e32 v40, 0, v40, vcc
	v_mov_b32_e32 v41, 0x7f800000
	v_cmp_nlt_f32_e32 vcc, s2, v26
	v_cndmask_b32_e32 v26, v41, v40, vcc
	v_add_f32_e32 v26, 1.0, v26
	v_div_scale_f32 v40, s[2:3], v26, v26, 1.0
	v_rcp_f32_e32 v41, v40
	v_fma_f32 v42, -v40, v41, 1.0
	v_fmac_f32_e32 v41, v42, v41
	v_div_scale_f32 v42, vcc, 1.0, v26, 1.0
	v_mul_f32_e32 v43, v42, v41
	v_fma_f32 v44, -v40, v43, v42
	v_fmac_f32_e32 v43, v44, v41
	v_fma_f32 v40, -v40, v43, v42
	v_div_fmas_f32 v40, v40, v41, v43
	v_div_fixup_f32 v26, v40, v26, 1.0
.LBB2_31:
	s_or_b64 exec, exec, s[0:1]
	v_lshrrev_b32_e32 v41, 16, v27
	v_cmp_o_f16_e32 vcc, v41, v41
	v_mov_b32_e32 v40, 0
	v_mov_b32_e32 v27, 0
	s_and_saveexec_b64 s[0:1], vcc
	s_cbranch_execz .LBB2_33
; %bb.32:
	v_cvt_f32_f16_e64 v27, -v41
	s_mov_b32 s2, 0x3fb8aa3b
	s_mov_b32 s3, 0x32a5705f
	v_mul_f32_e32 v42, 0x3fb8aa3b, v27
	v_rndne_f32_e32 v43, v42
	v_fma_mix_f32 v44, -v41, s2, -v42 op_sel_hi:[1,0,0]
	v_sub_f32_e32 v42, v42, v43
	v_fma_mix_f32 v41, -v41, s3, v44 op_sel_hi:[1,0,0]
	v_add_f32_e32 v41, v42, v41
	v_cvt_i32_f32_e32 v42, v43
	v_exp_f32_e32 v41, v41
	s_mov_b32 s2, 0xc2ce8ed0
	v_cmp_ngt_f32_e32 vcc, s2, v27
	s_mov_b32 s2, 0x42b17218
	v_ldexp_f32 v41, v41, v42
	v_cndmask_b32_e32 v41, 0, v41, vcc
	v_mov_b32_e32 v42, 0x7f800000
	v_cmp_nlt_f32_e32 vcc, s2, v27
	v_cndmask_b32_e32 v27, v42, v41, vcc
	v_add_f32_e32 v27, 1.0, v27
	v_div_scale_f32 v41, s[2:3], v27, v27, 1.0
	v_rcp_f32_e32 v42, v41
	v_fma_f32 v43, -v41, v42, 1.0
	v_fmac_f32_e32 v42, v43, v42
	v_div_scale_f32 v43, vcc, 1.0, v27, 1.0
	v_mul_f32_e32 v44, v43, v42
	v_fma_f32 v45, -v41, v44, v43
	v_fmac_f32_e32 v44, v45, v42
	v_fma_f32 v41, -v41, v44, v43
	v_div_fmas_f32 v41, v41, v42, v44
	v_div_fixup_f32 v27, v41, v27, 1.0
.LBB2_33:
	s_or_b64 exec, exec, s[0:1]
	v_cmp_o_f16_e32 vcc, v20, v20
	s_and_saveexec_b64 s[0:1], vcc
	s_cbranch_execz .LBB2_35
; %bb.34:
	v_cvt_f32_f16_e64 v40, -v20
	s_mov_b32 s2, 0x3fb8aa3b
	s_mov_b32 s3, 0x32a5705f
	v_mul_f32_e32 v41, 0x3fb8aa3b, v40
	v_rndne_f32_e32 v42, v41
	v_fma_mix_f32 v43, -v20, s2, -v41 op_sel_hi:[1,0,0]
	v_sub_f32_e32 v41, v41, v42
	v_fma_mix_f32 v43, -v20, s3, v43 op_sel_hi:[1,0,0]
	v_add_f32_e32 v41, v41, v43
	v_cvt_i32_f32_e32 v42, v42
	v_exp_f32_e32 v41, v41
	s_mov_b32 s2, 0xc2ce8ed0
	v_cmp_ngt_f32_e32 vcc, s2, v40
	s_mov_b32 s2, 0x42b17218
	v_ldexp_f32 v41, v41, v42
	v_cndmask_b32_e32 v41, 0, v41, vcc
	v_mov_b32_e32 v42, 0x7f800000
	v_cmp_nlt_f32_e32 vcc, s2, v40
	v_cndmask_b32_e32 v40, v42, v41, vcc
	v_add_f32_e32 v40, 1.0, v40
	v_div_scale_f32 v41, s[2:3], v40, v40, 1.0
	v_rcp_f32_e32 v42, v41
	v_fma_f32 v43, -v41, v42, 1.0
	v_fmac_f32_e32 v42, v43, v42
	v_div_scale_f32 v43, vcc, 1.0, v40, 1.0
	v_mul_f32_e32 v44, v43, v42
	v_fma_f32 v45, -v41, v44, v43
	v_fmac_f32_e32 v44, v45, v42
	v_fma_f32 v41, -v41, v44, v43
	v_div_fmas_f32 v41, v41, v42, v44
	v_div_fixup_f32 v40, v41, v40, 1.0
.LBB2_35:
	s_or_b64 exec, exec, s[0:1]
	v_lshrrev_b32_e32 v42, 16, v20
	v_cmp_o_f16_e32 vcc, v42, v42
	v_mov_b32_e32 v20, 0
	v_mov_b32_e32 v41, 0
	s_and_saveexec_b64 s[0:1], vcc
	s_cbranch_execz .LBB2_37
; %bb.36:
	v_cvt_f32_f16_e64 v41, -v42
	s_mov_b32 s2, 0x3fb8aa3b
	s_mov_b32 s3, 0x32a5705f
	v_mul_f32_e32 v43, 0x3fb8aa3b, v41
	v_rndne_f32_e32 v44, v43
	v_fma_mix_f32 v45, -v42, s2, -v43 op_sel_hi:[1,0,0]
	v_sub_f32_e32 v43, v43, v44
	v_fma_mix_f32 v42, -v42, s3, v45 op_sel_hi:[1,0,0]
	v_add_f32_e32 v42, v43, v42
	v_cvt_i32_f32_e32 v43, v44
	v_exp_f32_e32 v42, v42
	s_mov_b32 s2, 0xc2ce8ed0
	v_cmp_ngt_f32_e32 vcc, s2, v41
	s_mov_b32 s2, 0x42b17218
	v_ldexp_f32 v42, v42, v43
	v_cndmask_b32_e32 v42, 0, v42, vcc
	v_mov_b32_e32 v43, 0x7f800000
	v_cmp_nlt_f32_e32 vcc, s2, v41
	v_cndmask_b32_e32 v41, v43, v42, vcc
	v_add_f32_e32 v41, 1.0, v41
	v_div_scale_f32 v42, s[2:3], v41, v41, 1.0
	v_rcp_f32_e32 v43, v42
	v_fma_f32 v44, -v42, v43, 1.0
	v_fmac_f32_e32 v43, v44, v43
	v_div_scale_f32 v44, vcc, 1.0, v41, 1.0
	v_mul_f32_e32 v45, v44, v43
	v_fma_f32 v46, -v42, v45, v44
	v_fmac_f32_e32 v45, v46, v43
	v_fma_f32 v42, -v42, v45, v44
	v_div_fmas_f32 v42, v42, v43, v45
	v_div_fixup_f32 v41, v42, v41, 1.0
.LBB2_37:
	s_or_b64 exec, exec, s[0:1]
	v_cmp_o_f16_e32 vcc, v21, v21
	s_and_saveexec_b64 s[0:1], vcc
	s_cbranch_execz .LBB2_39
; %bb.38:
	v_cvt_f32_f16_e64 v20, -v21
	s_mov_b32 s2, 0x3fb8aa3b
	s_mov_b32 s3, 0x32a5705f
	v_mul_f32_e32 v42, 0x3fb8aa3b, v20
	v_rndne_f32_e32 v43, v42
	v_fma_mix_f32 v44, -v21, s2, -v42 op_sel_hi:[1,0,0]
	v_sub_f32_e32 v42, v42, v43
	v_fma_mix_f32 v44, -v21, s3, v44 op_sel_hi:[1,0,0]
	v_add_f32_e32 v42, v42, v44
	v_cvt_i32_f32_e32 v43, v43
	v_exp_f32_e32 v42, v42
	s_mov_b32 s2, 0xc2ce8ed0
	v_cmp_ngt_f32_e32 vcc, s2, v20
	s_mov_b32 s2, 0x42b17218
	v_ldexp_f32 v42, v42, v43
	v_cndmask_b32_e32 v42, 0, v42, vcc
	v_mov_b32_e32 v43, 0x7f800000
	v_cmp_nlt_f32_e32 vcc, s2, v20
	v_cndmask_b32_e32 v20, v43, v42, vcc
	v_add_f32_e32 v20, 1.0, v20
	v_div_scale_f32 v42, s[2:3], v20, v20, 1.0
	v_rcp_f32_e32 v43, v42
	v_fma_f32 v44, -v42, v43, 1.0
	v_fmac_f32_e32 v43, v44, v43
	v_div_scale_f32 v44, vcc, 1.0, v20, 1.0
	v_mul_f32_e32 v45, v44, v43
	v_fma_f32 v46, -v42, v45, v44
	v_fmac_f32_e32 v45, v46, v43
	v_fma_f32 v42, -v42, v45, v44
	v_div_fmas_f32 v42, v42, v43, v45
	v_div_fixup_f32 v20, v42, v20, 1.0
.LBB2_39:
	s_or_b64 exec, exec, s[0:1]
	v_lshrrev_b32_e32 v43, 16, v21
	v_cmp_o_f16_e32 vcc, v43, v43
	v_mov_b32_e32 v42, 0
	v_mov_b32_e32 v21, 0
	s_and_saveexec_b64 s[0:1], vcc
	s_cbranch_execz .LBB2_41
; %bb.40:
	v_cvt_f32_f16_e64 v21, -v43
	s_mov_b32 s2, 0x3fb8aa3b
	s_mov_b32 s3, 0x32a5705f
	v_mul_f32_e32 v44, 0x3fb8aa3b, v21
	v_rndne_f32_e32 v45, v44
	v_fma_mix_f32 v46, -v43, s2, -v44 op_sel_hi:[1,0,0]
	v_sub_f32_e32 v44, v44, v45
	v_fma_mix_f32 v43, -v43, s3, v46 op_sel_hi:[1,0,0]
	v_add_f32_e32 v43, v44, v43
	v_cvt_i32_f32_e32 v44, v45
	v_exp_f32_e32 v43, v43
	s_mov_b32 s2, 0xc2ce8ed0
	v_cmp_ngt_f32_e32 vcc, s2, v21
	s_mov_b32 s2, 0x42b17218
	v_ldexp_f32 v43, v43, v44
	v_cndmask_b32_e32 v43, 0, v43, vcc
	v_mov_b32_e32 v44, 0x7f800000
	v_cmp_nlt_f32_e32 vcc, s2, v21
	v_cndmask_b32_e32 v21, v44, v43, vcc
	v_add_f32_e32 v21, 1.0, v21
	v_div_scale_f32 v43, s[2:3], v21, v21, 1.0
	v_rcp_f32_e32 v44, v43
	v_fma_f32 v45, -v43, v44, 1.0
	v_fmac_f32_e32 v44, v45, v44
	v_div_scale_f32 v45, vcc, 1.0, v21, 1.0
	v_mul_f32_e32 v46, v45, v44
	v_fma_f32 v47, -v43, v46, v45
	v_fmac_f32_e32 v46, v47, v44
	v_fma_f32 v43, -v43, v46, v45
	v_div_fmas_f32 v43, v43, v44, v46
	v_div_fixup_f32 v21, v43, v21, 1.0
.LBB2_41:
	s_or_b64 exec, exec, s[0:1]
	v_cmp_o_f16_e32 vcc, v22, v22
	s_and_saveexec_b64 s[0:1], vcc
	s_cbranch_execz .LBB2_43
; %bb.42:
	v_cvt_f32_f16_e64 v42, -v22
	s_mov_b32 s2, 0x3fb8aa3b
	s_mov_b32 s3, 0x32a5705f
	v_mul_f32_e32 v43, 0x3fb8aa3b, v42
	v_rndne_f32_e32 v44, v43
	v_fma_mix_f32 v45, -v22, s2, -v43 op_sel_hi:[1,0,0]
	v_sub_f32_e32 v43, v43, v44
	v_fma_mix_f32 v45, -v22, s3, v45 op_sel_hi:[1,0,0]
	v_add_f32_e32 v43, v43, v45
	v_cvt_i32_f32_e32 v44, v44
	v_exp_f32_e32 v43, v43
	s_mov_b32 s2, 0xc2ce8ed0
	v_cmp_ngt_f32_e32 vcc, s2, v42
	s_mov_b32 s2, 0x42b17218
	v_ldexp_f32 v43, v43, v44
	v_cndmask_b32_e32 v43, 0, v43, vcc
	v_mov_b32_e32 v44, 0x7f800000
	v_cmp_nlt_f32_e32 vcc, s2, v42
	v_cndmask_b32_e32 v42, v44, v43, vcc
	v_add_f32_e32 v42, 1.0, v42
	v_div_scale_f32 v43, s[2:3], v42, v42, 1.0
	v_rcp_f32_e32 v44, v43
	v_fma_f32 v45, -v43, v44, 1.0
	v_fmac_f32_e32 v44, v45, v44
	v_div_scale_f32 v45, vcc, 1.0, v42, 1.0
	v_mul_f32_e32 v46, v45, v44
	v_fma_f32 v47, -v43, v46, v45
	v_fmac_f32_e32 v46, v47, v44
	v_fma_f32 v43, -v43, v46, v45
	v_div_fmas_f32 v43, v43, v44, v46
	v_div_fixup_f32 v42, v43, v42, 1.0
.LBB2_43:
	s_or_b64 exec, exec, s[0:1]
	v_lshrrev_b32_e32 v44, 16, v22
	v_cmp_o_f16_e32 vcc, v44, v44
	v_mov_b32_e32 v22, 0
	v_mov_b32_e32 v43, 0
	s_and_saveexec_b64 s[0:1], vcc
	s_cbranch_execz .LBB2_45
; %bb.44:
	v_cvt_f32_f16_e64 v43, -v44
	s_mov_b32 s2, 0x3fb8aa3b
	s_mov_b32 s3, 0x32a5705f
	v_mul_f32_e32 v45, 0x3fb8aa3b, v43
	v_rndne_f32_e32 v46, v45
	v_fma_mix_f32 v47, -v44, s2, -v45 op_sel_hi:[1,0,0]
	v_sub_f32_e32 v45, v45, v46
	v_fma_mix_f32 v44, -v44, s3, v47 op_sel_hi:[1,0,0]
	v_add_f32_e32 v44, v45, v44
	v_cvt_i32_f32_e32 v45, v46
	v_exp_f32_e32 v44, v44
	s_mov_b32 s2, 0xc2ce8ed0
	v_cmp_ngt_f32_e32 vcc, s2, v43
	s_mov_b32 s2, 0x42b17218
	v_ldexp_f32 v44, v44, v45
	v_cndmask_b32_e32 v44, 0, v44, vcc
	v_mov_b32_e32 v45, 0x7f800000
	v_cmp_nlt_f32_e32 vcc, s2, v43
	v_cndmask_b32_e32 v43, v45, v44, vcc
	v_add_f32_e32 v43, 1.0, v43
	v_div_scale_f32 v44, s[2:3], v43, v43, 1.0
	v_rcp_f32_e32 v45, v44
	v_fma_f32 v46, -v44, v45, 1.0
	v_fmac_f32_e32 v45, v46, v45
	v_div_scale_f32 v46, vcc, 1.0, v43, 1.0
	v_mul_f32_e32 v47, v46, v45
	v_fma_f32 v48, -v44, v47, v46
	v_fmac_f32_e32 v47, v48, v45
	v_fma_f32 v44, -v44, v47, v46
	v_div_fmas_f32 v44, v44, v45, v47
	v_div_fixup_f32 v43, v44, v43, 1.0
.LBB2_45:
	s_or_b64 exec, exec, s[0:1]
	v_cmp_o_f16_e32 vcc, v23, v23
	s_and_saveexec_b64 s[0:1], vcc
	s_cbranch_execz .LBB2_47
; %bb.46:
	v_cvt_f32_f16_e64 v22, -v23
	s_mov_b32 s2, 0x3fb8aa3b
	s_mov_b32 s3, 0x32a5705f
	v_mul_f32_e32 v44, 0x3fb8aa3b, v22
	v_rndne_f32_e32 v45, v44
	v_fma_mix_f32 v46, -v23, s2, -v44 op_sel_hi:[1,0,0]
	v_sub_f32_e32 v44, v44, v45
	v_fma_mix_f32 v46, -v23, s3, v46 op_sel_hi:[1,0,0]
	v_add_f32_e32 v44, v44, v46
	v_cvt_i32_f32_e32 v45, v45
	v_exp_f32_e32 v44, v44
	s_mov_b32 s2, 0xc2ce8ed0
	v_cmp_ngt_f32_e32 vcc, s2, v22
	s_mov_b32 s2, 0x42b17218
	v_ldexp_f32 v44, v44, v45
	v_cndmask_b32_e32 v44, 0, v44, vcc
	v_mov_b32_e32 v45, 0x7f800000
	v_cmp_nlt_f32_e32 vcc, s2, v22
	v_cndmask_b32_e32 v22, v45, v44, vcc
	v_add_f32_e32 v22, 1.0, v22
	v_div_scale_f32 v44, s[2:3], v22, v22, 1.0
	v_rcp_f32_e32 v45, v44
	v_fma_f32 v46, -v44, v45, 1.0
	v_fmac_f32_e32 v45, v46, v45
	v_div_scale_f32 v46, vcc, 1.0, v22, 1.0
	v_mul_f32_e32 v47, v46, v45
	v_fma_f32 v48, -v44, v47, v46
	v_fmac_f32_e32 v47, v48, v45
	v_fma_f32 v44, -v44, v47, v46
	v_div_fmas_f32 v44, v44, v45, v47
	v_div_fixup_f32 v22, v44, v22, 1.0
.LBB2_47:
	s_or_b64 exec, exec, s[0:1]
	v_lshrrev_b32_e32 v45, 16, v23
	v_cmp_o_f16_e32 vcc, v45, v45
	v_mov_b32_e32 v44, 0
	v_mov_b32_e32 v23, 0
	s_and_saveexec_b64 s[0:1], vcc
	s_cbranch_execz .LBB2_49
; %bb.48:
	v_cvt_f32_f16_e64 v23, -v45
	s_mov_b32 s2, 0x3fb8aa3b
	s_mov_b32 s3, 0x32a5705f
	v_mul_f32_e32 v46, 0x3fb8aa3b, v23
	v_rndne_f32_e32 v47, v46
	v_fma_mix_f32 v48, -v45, s2, -v46 op_sel_hi:[1,0,0]
	v_sub_f32_e32 v46, v46, v47
	v_fma_mix_f32 v45, -v45, s3, v48 op_sel_hi:[1,0,0]
	v_add_f32_e32 v45, v46, v45
	v_cvt_i32_f32_e32 v46, v47
	v_exp_f32_e32 v45, v45
	s_mov_b32 s2, 0xc2ce8ed0
	v_cmp_ngt_f32_e32 vcc, s2, v23
	s_mov_b32 s2, 0x42b17218
	v_ldexp_f32 v45, v45, v46
	v_cndmask_b32_e32 v45, 0, v45, vcc
	v_mov_b32_e32 v46, 0x7f800000
	v_cmp_nlt_f32_e32 vcc, s2, v23
	v_cndmask_b32_e32 v23, v46, v45, vcc
	v_add_f32_e32 v23, 1.0, v23
	v_div_scale_f32 v45, s[2:3], v23, v23, 1.0
	v_rcp_f32_e32 v46, v45
	v_fma_f32 v47, -v45, v46, 1.0
	v_fmac_f32_e32 v46, v47, v46
	v_div_scale_f32 v47, vcc, 1.0, v23, 1.0
	v_mul_f32_e32 v48, v47, v46
	v_fma_f32 v49, -v45, v48, v47
	v_fmac_f32_e32 v48, v49, v46
	v_fma_f32 v45, -v45, v48, v47
	v_div_fmas_f32 v45, v45, v46, v48
	v_div_fixup_f32 v23, v45, v23, 1.0
.LBB2_49:
	s_or_b64 exec, exec, s[0:1]
	v_cmp_o_f16_e32 vcc, v16, v16
	s_and_saveexec_b64 s[0:1], vcc
	s_cbranch_execz .LBB2_51
; %bb.50:
	v_cvt_f32_f16_e64 v44, -v16
	s_mov_b32 s2, 0x3fb8aa3b
	s_mov_b32 s3, 0x32a5705f
	v_mul_f32_e32 v45, 0x3fb8aa3b, v44
	v_rndne_f32_e32 v46, v45
	v_fma_mix_f32 v47, -v16, s2, -v45 op_sel_hi:[1,0,0]
	v_sub_f32_e32 v45, v45, v46
	v_fma_mix_f32 v47, -v16, s3, v47 op_sel_hi:[1,0,0]
	v_add_f32_e32 v45, v45, v47
	v_cvt_i32_f32_e32 v46, v46
	v_exp_f32_e32 v45, v45
	s_mov_b32 s2, 0xc2ce8ed0
	v_cmp_ngt_f32_e32 vcc, s2, v44
	s_mov_b32 s2, 0x42b17218
	v_ldexp_f32 v45, v45, v46
	v_cndmask_b32_e32 v45, 0, v45, vcc
	v_mov_b32_e32 v46, 0x7f800000
	v_cmp_nlt_f32_e32 vcc, s2, v44
	v_cndmask_b32_e32 v44, v46, v45, vcc
	v_add_f32_e32 v44, 1.0, v44
	v_div_scale_f32 v45, s[2:3], v44, v44, 1.0
	v_rcp_f32_e32 v46, v45
	v_fma_f32 v47, -v45, v46, 1.0
	v_fmac_f32_e32 v46, v47, v46
	v_div_scale_f32 v47, vcc, 1.0, v44, 1.0
	v_mul_f32_e32 v48, v47, v46
	v_fma_f32 v49, -v45, v48, v47
	v_fmac_f32_e32 v48, v49, v46
	v_fma_f32 v45, -v45, v48, v47
	v_div_fmas_f32 v45, v45, v46, v48
	v_div_fixup_f32 v44, v45, v44, 1.0
.LBB2_51:
	s_or_b64 exec, exec, s[0:1]
	v_lshrrev_b32_e32 v46, 16, v16
	v_cmp_o_f16_e32 vcc, v46, v46
	v_mov_b32_e32 v16, 0
	v_mov_b32_e32 v45, 0
	s_and_saveexec_b64 s[0:1], vcc
	s_cbranch_execz .LBB2_53
; %bb.52:
	v_cvt_f32_f16_e64 v45, -v46
	s_mov_b32 s2, 0x3fb8aa3b
	s_mov_b32 s3, 0x32a5705f
	v_mul_f32_e32 v47, 0x3fb8aa3b, v45
	v_rndne_f32_e32 v48, v47
	v_fma_mix_f32 v49, -v46, s2, -v47 op_sel_hi:[1,0,0]
	v_sub_f32_e32 v47, v47, v48
	v_fma_mix_f32 v46, -v46, s3, v49 op_sel_hi:[1,0,0]
	v_add_f32_e32 v46, v47, v46
	v_cvt_i32_f32_e32 v47, v48
	v_exp_f32_e32 v46, v46
	s_mov_b32 s2, 0xc2ce8ed0
	v_cmp_ngt_f32_e32 vcc, s2, v45
	s_mov_b32 s2, 0x42b17218
	v_ldexp_f32 v46, v46, v47
	v_cndmask_b32_e32 v46, 0, v46, vcc
	v_mov_b32_e32 v47, 0x7f800000
	v_cmp_nlt_f32_e32 vcc, s2, v45
	v_cndmask_b32_e32 v45, v47, v46, vcc
	v_add_f32_e32 v45, 1.0, v45
	v_div_scale_f32 v46, s[2:3], v45, v45, 1.0
	v_rcp_f32_e32 v47, v46
	v_fma_f32 v48, -v46, v47, 1.0
	v_fmac_f32_e32 v47, v48, v47
	v_div_scale_f32 v48, vcc, 1.0, v45, 1.0
	v_mul_f32_e32 v49, v48, v47
	v_fma_f32 v50, -v46, v49, v48
	v_fmac_f32_e32 v49, v50, v47
	v_fma_f32 v46, -v46, v49, v48
	v_div_fmas_f32 v46, v46, v47, v49
	v_div_fixup_f32 v45, v46, v45, 1.0
.LBB2_53:
	s_or_b64 exec, exec, s[0:1]
	v_cmp_o_f16_e32 vcc, v17, v17
	s_and_saveexec_b64 s[0:1], vcc
	s_cbranch_execz .LBB2_55
; %bb.54:
	v_cvt_f32_f16_e64 v16, -v17
	s_mov_b32 s2, 0x3fb8aa3b
	s_mov_b32 s3, 0x32a5705f
	v_mul_f32_e32 v46, 0x3fb8aa3b, v16
	v_rndne_f32_e32 v47, v46
	v_fma_mix_f32 v48, -v17, s2, -v46 op_sel_hi:[1,0,0]
	v_sub_f32_e32 v46, v46, v47
	v_fma_mix_f32 v48, -v17, s3, v48 op_sel_hi:[1,0,0]
	v_add_f32_e32 v46, v46, v48
	v_cvt_i32_f32_e32 v47, v47
	v_exp_f32_e32 v46, v46
	s_mov_b32 s2, 0xc2ce8ed0
	v_cmp_ngt_f32_e32 vcc, s2, v16
	s_mov_b32 s2, 0x42b17218
	v_ldexp_f32 v46, v46, v47
	v_cndmask_b32_e32 v46, 0, v46, vcc
	v_mov_b32_e32 v47, 0x7f800000
	v_cmp_nlt_f32_e32 vcc, s2, v16
	v_cndmask_b32_e32 v16, v47, v46, vcc
	v_add_f32_e32 v16, 1.0, v16
	v_div_scale_f32 v46, s[2:3], v16, v16, 1.0
	v_rcp_f32_e32 v47, v46
	v_fma_f32 v48, -v46, v47, 1.0
	v_fmac_f32_e32 v47, v48, v47
	v_div_scale_f32 v48, vcc, 1.0, v16, 1.0
	v_mul_f32_e32 v49, v48, v47
	v_fma_f32 v50, -v46, v49, v48
	v_fmac_f32_e32 v49, v50, v47
	v_fma_f32 v46, -v46, v49, v48
	v_div_fmas_f32 v46, v46, v47, v49
	v_div_fixup_f32 v16, v46, v16, 1.0
.LBB2_55:
	s_or_b64 exec, exec, s[0:1]
	v_lshrrev_b32_e32 v47, 16, v17
	v_cmp_o_f16_e32 vcc, v47, v47
	v_mov_b32_e32 v46, 0
	v_mov_b32_e32 v17, 0
	s_and_saveexec_b64 s[0:1], vcc
	s_cbranch_execz .LBB2_57
; %bb.56:
	v_cvt_f32_f16_e64 v17, -v47
	s_mov_b32 s2, 0x3fb8aa3b
	s_mov_b32 s3, 0x32a5705f
	v_mul_f32_e32 v48, 0x3fb8aa3b, v17
	v_rndne_f32_e32 v49, v48
	v_fma_mix_f32 v50, -v47, s2, -v48 op_sel_hi:[1,0,0]
	v_sub_f32_e32 v48, v48, v49
	v_fma_mix_f32 v47, -v47, s3, v50 op_sel_hi:[1,0,0]
	v_add_f32_e32 v47, v48, v47
	v_cvt_i32_f32_e32 v48, v49
	v_exp_f32_e32 v47, v47
	s_mov_b32 s2, 0xc2ce8ed0
	v_cmp_ngt_f32_e32 vcc, s2, v17
	s_mov_b32 s2, 0x42b17218
	v_ldexp_f32 v47, v47, v48
	v_cndmask_b32_e32 v47, 0, v47, vcc
	v_mov_b32_e32 v48, 0x7f800000
	v_cmp_nlt_f32_e32 vcc, s2, v17
	v_cndmask_b32_e32 v17, v48, v47, vcc
	v_add_f32_e32 v17, 1.0, v17
	v_div_scale_f32 v47, s[2:3], v17, v17, 1.0
	v_rcp_f32_e32 v48, v47
	v_fma_f32 v49, -v47, v48, 1.0
	v_fmac_f32_e32 v48, v49, v48
	v_div_scale_f32 v49, vcc, 1.0, v17, 1.0
	v_mul_f32_e32 v50, v49, v48
	v_fma_f32 v51, -v47, v50, v49
	v_fmac_f32_e32 v50, v51, v48
	v_fma_f32 v47, -v47, v50, v49
	v_div_fmas_f32 v47, v47, v48, v50
	v_div_fixup_f32 v17, v47, v17, 1.0
.LBB2_57:
	s_or_b64 exec, exec, s[0:1]
	v_cmp_o_f16_e32 vcc, v18, v18
	s_and_saveexec_b64 s[0:1], vcc
	s_cbranch_execz .LBB2_59
; %bb.58:
	v_cvt_f32_f16_e64 v46, -v18
	s_mov_b32 s2, 0x3fb8aa3b
	s_mov_b32 s3, 0x32a5705f
	v_mul_f32_e32 v47, 0x3fb8aa3b, v46
	v_rndne_f32_e32 v48, v47
	v_fma_mix_f32 v49, -v18, s2, -v47 op_sel_hi:[1,0,0]
	v_sub_f32_e32 v47, v47, v48
	v_fma_mix_f32 v49, -v18, s3, v49 op_sel_hi:[1,0,0]
	v_add_f32_e32 v47, v47, v49
	v_cvt_i32_f32_e32 v48, v48
	v_exp_f32_e32 v47, v47
	s_mov_b32 s2, 0xc2ce8ed0
	v_cmp_ngt_f32_e32 vcc, s2, v46
	s_mov_b32 s2, 0x42b17218
	v_ldexp_f32 v47, v47, v48
	v_cndmask_b32_e32 v47, 0, v47, vcc
	v_mov_b32_e32 v48, 0x7f800000
	v_cmp_nlt_f32_e32 vcc, s2, v46
	v_cndmask_b32_e32 v46, v48, v47, vcc
	v_add_f32_e32 v46, 1.0, v46
	v_div_scale_f32 v47, s[2:3], v46, v46, 1.0
	v_rcp_f32_e32 v48, v47
	v_fma_f32 v49, -v47, v48, 1.0
	v_fmac_f32_e32 v48, v49, v48
	v_div_scale_f32 v49, vcc, 1.0, v46, 1.0
	v_mul_f32_e32 v50, v49, v48
	v_fma_f32 v51, -v47, v50, v49
	v_fmac_f32_e32 v50, v51, v48
	v_fma_f32 v47, -v47, v50, v49
	v_div_fmas_f32 v47, v47, v48, v50
	v_div_fixup_f32 v46, v47, v46, 1.0
.LBB2_59:
	s_or_b64 exec, exec, s[0:1]
	v_lshrrev_b32_e32 v48, 16, v18
	v_cmp_o_f16_e32 vcc, v48, v48
	v_mov_b32_e32 v18, 0
	v_mov_b32_e32 v47, 0
	s_and_saveexec_b64 s[0:1], vcc
	s_cbranch_execz .LBB2_61
; %bb.60:
	v_cvt_f32_f16_e64 v47, -v48
	s_mov_b32 s2, 0x3fb8aa3b
	s_mov_b32 s3, 0x32a5705f
	v_mul_f32_e32 v49, 0x3fb8aa3b, v47
	v_rndne_f32_e32 v50, v49
	v_fma_mix_f32 v51, -v48, s2, -v49 op_sel_hi:[1,0,0]
	v_sub_f32_e32 v49, v49, v50
	v_fma_mix_f32 v48, -v48, s3, v51 op_sel_hi:[1,0,0]
	v_add_f32_e32 v48, v49, v48
	v_cvt_i32_f32_e32 v49, v50
	v_exp_f32_e32 v48, v48
	s_mov_b32 s2, 0xc2ce8ed0
	v_cmp_ngt_f32_e32 vcc, s2, v47
	s_mov_b32 s2, 0x42b17218
	v_ldexp_f32 v48, v48, v49
	v_cndmask_b32_e32 v48, 0, v48, vcc
	v_mov_b32_e32 v49, 0x7f800000
	v_cmp_nlt_f32_e32 vcc, s2, v47
	v_cndmask_b32_e32 v47, v49, v48, vcc
	v_add_f32_e32 v47, 1.0, v47
	v_div_scale_f32 v48, s[2:3], v47, v47, 1.0
	v_rcp_f32_e32 v49, v48
	v_fma_f32 v50, -v48, v49, 1.0
	v_fmac_f32_e32 v49, v50, v49
	v_div_scale_f32 v50, vcc, 1.0, v47, 1.0
	v_mul_f32_e32 v51, v50, v49
	v_fma_f32 v52, -v48, v51, v50
	v_fmac_f32_e32 v51, v52, v49
	v_fma_f32 v48, -v48, v51, v50
	v_div_fmas_f32 v48, v48, v49, v51
	v_div_fixup_f32 v47, v48, v47, 1.0
.LBB2_61:
	s_or_b64 exec, exec, s[0:1]
	v_cmp_o_f16_e32 vcc, v19, v19
	s_and_saveexec_b64 s[0:1], vcc
	s_cbranch_execz .LBB2_63
; %bb.62:
	v_cvt_f32_f16_e64 v18, -v19
	s_mov_b32 s2, 0x3fb8aa3b
	s_mov_b32 s3, 0x32a5705f
	v_mul_f32_e32 v48, 0x3fb8aa3b, v18
	v_rndne_f32_e32 v49, v48
	v_fma_mix_f32 v50, -v19, s2, -v48 op_sel_hi:[1,0,0]
	v_sub_f32_e32 v48, v48, v49
	v_fma_mix_f32 v50, -v19, s3, v50 op_sel_hi:[1,0,0]
	v_add_f32_e32 v48, v48, v50
	v_cvt_i32_f32_e32 v49, v49
	v_exp_f32_e32 v48, v48
	s_mov_b32 s2, 0xc2ce8ed0
	v_cmp_ngt_f32_e32 vcc, s2, v18
	s_mov_b32 s2, 0x42b17218
	v_ldexp_f32 v48, v48, v49
	v_cndmask_b32_e32 v48, 0, v48, vcc
	v_mov_b32_e32 v49, 0x7f800000
	v_cmp_nlt_f32_e32 vcc, s2, v18
	v_cndmask_b32_e32 v18, v49, v48, vcc
	v_add_f32_e32 v18, 1.0, v18
	v_div_scale_f32 v48, s[2:3], v18, v18, 1.0
	v_rcp_f32_e32 v49, v48
	v_fma_f32 v50, -v48, v49, 1.0
	v_fmac_f32_e32 v49, v50, v49
	v_div_scale_f32 v50, vcc, 1.0, v18, 1.0
	v_mul_f32_e32 v51, v50, v49
	v_fma_f32 v52, -v48, v51, v50
	v_fmac_f32_e32 v51, v52, v49
	v_fma_f32 v48, -v48, v51, v50
	v_div_fmas_f32 v48, v48, v49, v51
	v_div_fixup_f32 v18, v48, v18, 1.0
.LBB2_63:
	s_or_b64 exec, exec, s[0:1]
	v_lshrrev_b32_e32 v48, 16, v19
	v_cmp_o_f16_e32 vcc, v48, v48
	v_mov_b32_e32 v19, 0
	s_and_saveexec_b64 s[0:1], vcc
	s_cbranch_execz .LBB2_65
; %bb.64:
	v_cvt_f32_f16_e64 v19, -v48
	s_mov_b32 s2, 0x3fb8aa3b
	s_mov_b32 s3, 0x32a5705f
	v_mul_f32_e32 v49, 0x3fb8aa3b, v19
	v_rndne_f32_e32 v50, v49
	v_fma_mix_f32 v51, -v48, s2, -v49 op_sel_hi:[1,0,0]
	v_sub_f32_e32 v49, v49, v50
	v_fma_mix_f32 v48, -v48, s3, v51 op_sel_hi:[1,0,0]
	v_add_f32_e32 v48, v49, v48
	v_cvt_i32_f32_e32 v49, v50
	v_exp_f32_e32 v48, v48
	s_mov_b32 s2, 0xc2ce8ed0
	v_cmp_ngt_f32_e32 vcc, s2, v19
	s_mov_b32 s2, 0x42b17218
	v_ldexp_f32 v48, v48, v49
	v_cndmask_b32_e32 v48, 0, v48, vcc
	v_mov_b32_e32 v49, 0x7f800000
	v_cmp_nlt_f32_e32 vcc, s2, v19
	v_cndmask_b32_e32 v19, v49, v48, vcc
	v_add_f32_e32 v19, 1.0, v19
	v_div_scale_f32 v48, s[2:3], v19, v19, 1.0
	v_rcp_f32_e32 v49, v48
	v_fma_f32 v50, -v48, v49, 1.0
	v_fmac_f32_e32 v49, v50, v49
	v_div_scale_f32 v50, vcc, 1.0, v19, 1.0
	v_mul_f32_e32 v51, v50, v49
	v_fma_f32 v52, -v48, v51, v50
	v_fmac_f32_e32 v51, v52, v49
	v_fma_f32 v48, -v48, v51, v50
	v_div_fmas_f32 v48, v48, v49, v51
	v_div_fixup_f32 v19, v48, v19, 1.0
.LBB2_65:
	s_or_b64 exec, exec, s[0:1]
	s_waitcnt vmcnt(0)
	v_cvt_f32_f16_e32 v48, v12
	v_cvt_f32_f16_sdwa v12, v12 dst_sel:DWORD dst_unused:UNUSED_PAD src0_sel:WORD_1
	s_mov_b32 s2, 0xff7fffff
	v_add_f32_e32 v71, v69, v48
	v_add_f32_e32 v72, v70, v12
	v_max_f32_e32 v12, 0xff7fffff, v71
	v_cmp_ngt_f32_e32 vcc, v72, v12
	v_mov_b32_e32 v48, v12
	v_mov_b32_e32 v49, v72
	s_and_saveexec_b64 s[0:1], vcc
	s_cbranch_execz .LBB2_69
; %bb.66:
	v_cmp_lt_f32_e32 vcc, s2, v72
	v_mov_b32_e32 v48, 0xff7fffff
	s_and_saveexec_b64 s[2:3], vcc
; %bb.67:
	v_mov_b32_e32 v48, v72
; %bb.68:
	s_or_b64 exec, exec, s[2:3]
	v_mov_b32_e32 v49, v12
.LBB2_69:
	s_or_b64 exec, exec, s[0:1]
	v_cvt_f32_f16_sdwa v51, v13 dst_sel:DWORD dst_unused:UNUSED_PAD src0_sel:WORD_1
	v_cvt_f32_f16_e32 v50, v13
	v_mov_b32_e32 v52, v49
	v_pk_add_f32 v[12:13], v[28:29], v[50:51]
	v_cmp_ngt_f32_e32 vcc, v12, v49
	v_mov_b32_e32 v53, v12
	s_and_saveexec_b64 s[0:1], vcc
	s_cbranch_execz .LBB2_73
; %bb.70:
	v_cmp_gt_f32_e32 vcc, v12, v48
	s_and_saveexec_b64 s[2:3], vcc
; %bb.71:
	v_mov_b32_e32 v48, v12
; %bb.72:
	s_or_b64 exec, exec, s[2:3]
	v_mov_b32_e32 v52, v48
	v_mov_b32_e32 v53, v49
.LBB2_73:
	s_or_b64 exec, exec, s[0:1]
	v_cmp_ngt_f32_e32 vcc, v13, v53
	v_mov_b32_e32 v51, v53
	v_mov_b32_e32 v50, v13
	s_and_saveexec_b64 s[0:1], vcc
	s_cbranch_execz .LBB2_77
; %bb.74:
	v_cmp_gt_f32_e32 vcc, v13, v52
	s_and_saveexec_b64 s[2:3], vcc
; %bb.75:
	v_mov_b32_e32 v52, v13
; %bb.76:
	s_or_b64 exec, exec, s[2:3]
	v_mov_b32_e32 v51, v52
	v_mov_b32_e32 v50, v53
.LBB2_77:
	s_or_b64 exec, exec, s[0:1]
	v_cvt_f32_f16_sdwa v49, v14 dst_sel:DWORD dst_unused:UNUSED_PAD src0_sel:WORD_1
	v_cvt_f32_f16_e32 v48, v14
	v_mov_b32_e32 v14, v50
	v_pk_add_f32 v[48:49], v[34:35], v[48:49]
	v_cmp_ngt_f32_e32 vcc, v48, v50
	v_mov_b32_e32 v52, v48
	s_and_saveexec_b64 s[0:1], vcc
	s_cbranch_execz .LBB2_81
; %bb.78:
	v_cmp_gt_f32_e32 vcc, v48, v51
	s_and_saveexec_b64 s[2:3], vcc
; %bb.79:
	v_mov_b32_e32 v51, v48
; %bb.80:
	s_or_b64 exec, exec, s[2:3]
	v_mov_b32_e32 v14, v51
	v_mov_b32_e32 v52, v50
.LBB2_81:
	s_or_b64 exec, exec, s[0:1]
	v_cmp_ngt_f32_e32 vcc, v49, v52
	v_mov_b32_e32 v51, v52
	v_mov_b32_e32 v50, v49
	s_and_saveexec_b64 s[0:1], vcc
	s_cbranch_execz .LBB2_85
; %bb.82:
	v_cmp_gt_f32_e32 vcc, v49, v14
	s_and_saveexec_b64 s[2:3], vcc
; %bb.83:
	v_mov_b32_e32 v14, v49
; %bb.84:
	s_or_b64 exec, exec, s[2:3]
	v_mov_b32_e32 v51, v14
	v_mov_b32_e32 v50, v52
.LBB2_85:
	;; [unrolled: 35-line block ×15, first 2 shown]
	s_or_b64 exec, exec, s[0:1]
	v_cmp_lt_i64_e64 s[0:1], s[74:75], 8
	v_lshlrev_b32_e32 v74, 5, v68
	s_and_b64 vcc, exec, s[0:1]
	s_cbranch_vccz .LBB2_192
; %bb.190:
	s_sub_u32 s6, 8, s74
	s_subb_u32 s7, 0, s75
	v_add_f32_e32 v6, v6, v7
	s_mov_b64 s[8:9], 0
	v_mov_b32_e32 v7, 0x7f7fffff
.LBB2_191:                              ; =>This Inner Loop Header: Depth=1
	v_mov_b32_dpp v65, v74 quad_perm:[1,0,3,2] row_mask:0xf bank_mask:0xf
	v_mov_b32_dpp v66, v6 quad_perm:[1,0,3,2] row_mask:0xf bank_mask:0xf
	v_cmp_eq_f32_e64 s[0:1], v6, v66
	v_cmp_lt_i32_e64 s[2:3], v74, v65
	v_cmp_lt_f32_e32 vcc, v6, v66
	s_and_b64 s[0:1], s[2:3], s[0:1]
	s_or_b64 vcc, vcc, s[0:1]
	v_cndmask_b32_e32 v66, v66, v6, vcc
	v_cndmask_b32_e32 v65, v65, v74, vcc
	s_nop 0
	v_mov_b32_dpp v73, v66 quad_perm:[2,3,0,1] row_mask:0xf bank_mask:0xf
	v_mov_b32_dpp v67, v65 quad_perm:[2,3,0,1] row_mask:0xf bank_mask:0xf
	v_cmp_eq_f32_e32 vcc, v66, v73
	v_cmp_lt_i32_e64 s[0:1], v65, v67
	s_and_b64 vcc, vcc, s[0:1]
	v_cmp_lt_f32_e64 s[0:1], v66, v73
	v_cndmask_b32_e32 v75, v73, v66, vcc
	s_or_b64 vcc, s[0:1], vcc
	v_cndmask_b32_e64 v66, v75, v66, s[0:1]
	v_cndmask_b32_e32 v65, v67, v65, vcc
	s_add_u32 s8, s8, 1
	v_mov_b32_dpp v73, v66 row_half_mirror row_mask:0xf bank_mask:0xf
	v_mov_b32_dpp v67, v65 row_half_mirror row_mask:0xf bank_mask:0xf
	v_min_i32_e32 v75, v65, v67
	v_cmp_eq_f32_e32 vcc, v66, v73
	v_cndmask_b32_e32 v67, v67, v75, vcc
	v_cmp_lt_f32_e32 vcc, v66, v73
	v_cndmask_b32_e32 v65, v67, v65, vcc
	v_ashrrev_i32_e32 v66, 31, v65
	v_lshrrev_b32_e32 v66, 27, v66
	v_add_u32_e32 v65, v65, v66
	v_ashrrev_i32_e32 v65, 5, v65
	s_addc_u32 s9, s9, 0
	v_cmp_eq_u32_e32 vcc, v68, v65
	v_pk_mov_b32 v[66:67], s[8:9], s[8:9] op_sel:[0,1]
	v_cndmask_b32_e32 v71, v71, v7, vcc
	v_cndmask_b32_e32 v6, v6, v7, vcc
	v_cmp_le_i64_e32 vcc, s[6:7], v[66:67]
	s_cbranch_vccz .LBB2_191
.LBB2_192:
	s_sub_u32 s72, s76, s78
	s_subb_u32 s73, s77, s79
	s_mov_b64 s[0:1], src_shared_base
	s_cmp_lg_u32 0, -1
	s_cselect_b32 s0, s1, 0
	s_cselect_b32 s1, 0, 0
	s_add_u32 s1, s1, 0xff
	s_addc_u32 s0, s0, 0
	s_and_b32 s1, s1, 0xffffff00
	v_mov_b32_e32 v6, s1
	v_mov_b32_e32 v7, s0
	v_lshlrev_b32_e32 v65, 2, v64
	v_mad_u64_u32 v[6:7], s[0:1], v65, s76, v[6:7]
	s_load_dword s33, s[4:5], 0x48
	v_mov_b32_e32 v64, v7
	v_mad_u64_u32 v[64:65], s[0:1], v65, s77, v[64:65]
	v_cmp_lt_i64_e64 s[0:1], s[72:73], 1
	v_mov_b32_e32 v7, v64
	s_and_b64 vcc, exec, s[0:1]
	v_cmp_eq_u32_e64 s[0:1], 0, v68
	s_cbranch_vccnz .LBB2_203
; %bb.193:
	s_waitcnt lgkmcnt(0)
	v_mad_u64_u32 v[64:65], s[2:3], s33, v32, 0
	s_ashr_i32 s6, s33, 31
	v_mov_b32_e32 v66, v65
	v_mad_u64_u32 v[66:67], s[2:3], s6, v32, v[66:67]
	v_mov_b32_e32 v65, v66
	v_lshlrev_b64 v[64:65], 2, v[64:65]
	v_mov_b32_e32 v66, s71
	v_add_co_u32_e32 v64, vcc, s70, v64
	v_addc_co_u32_e32 v65, vcc, v66, v65, vcc
	v_mul_u32_u24_e32 v75, 32, v68
	s_mov_b64 s[74:75], 0
	v_mov_b32_e32 v73, 0
	s_mov_b32 s84, 0x7f7fffff
	v_mov_b32_e32 v76, 0xff7fffff
	v_pk_mov_b32 v[66:67], v[6:7], v[6:7] op_sel:[0,1]
	s_branch .LBB2_195
.LBB2_194:                              ;   in Loop: Header=BB2_195 Depth=1
	s_or_b64 exec, exec, s[2:3]
	v_add_co_u32_e32 v64, vcc, 4, v64
	s_add_u32 s74, s74, 1
	v_addc_co_u32_e32 v65, vcc, 0, v65, vcc
	s_addc_u32 s75, s75, 0
	v_add_co_u32_e32 v66, vcc, 4, v66
	v_addc_co_u32_e32 v67, vcc, 0, v67, vcc
	v_pk_mov_b32 v[78:79], s[74:75], s[74:75] op_sel:[0,1]
	v_cmp_le_i64_e32 vcc, s[72:73], v[78:79]
	s_cbranch_vccnz .LBB2_204
.LBB2_195:                              ; =>This Inner Loop Header: Depth=1
	v_cmp_neq_f32_e32 vcc, s84, v71
	v_mov_b32_e32 v77, 0xff7fffff
	v_mov_b32_e32 v78, v74
	s_and_saveexec_b64 s[2:3], vcc
	s_cbranch_execz .LBB2_197
; %bb.196:                              ;   in Loop: Header=BB2_195 Depth=1
	v_cmp_gt_f32_e32 vcc, v72, v71
	v_cndmask_b32_e32 v77, v71, v72, vcc
	v_cndmask_b32_e64 v78, 0, 1, vcc
	v_cmp_gt_f32_e32 vcc, v12, v77
	v_cndmask_b32_e32 v77, v77, v12, vcc
	v_cndmask_b32_e64 v78, v78, 2, vcc
	;; [unrolled: 3-line block ×30, first 2 shown]
	v_cmp_gt_f32_e32 vcc, v3, v77
	v_cndmask_b32_e64 v78, v78, 31, vcc
	v_cndmask_b32_e32 v77, v77, v3, vcc
	v_or_b32_e32 v78, v78, v74
.LBB2_197:                              ;   in Loop: Header=BB2_195 Depth=1
	s_or_b64 exec, exec, s[2:3]
	s_nop 0
	v_mov_b32_dpp v79, v78 quad_perm:[1,0,3,2] row_mask:0xf bank_mask:0xf
	v_mov_b32_dpp v80, v77 quad_perm:[1,0,3,2] row_mask:0xf bank_mask:0xf
	v_cmp_eq_f32_e64 s[2:3], v77, v80
	v_cmp_lt_i32_e64 s[6:7], v78, v79
	v_cmp_gt_f32_e32 vcc, v77, v80
	s_and_b64 s[2:3], s[2:3], s[6:7]
	s_or_b64 vcc, vcc, s[2:3]
	v_cndmask_b32_e32 v77, v80, v77, vcc
	v_cndmask_b32_e32 v78, v79, v78, vcc
	s_nop 0
	v_mov_b32_dpp v80, v77 quad_perm:[2,3,0,1] row_mask:0xf bank_mask:0xf
	v_mov_b32_dpp v79, v78 quad_perm:[2,3,0,1] row_mask:0xf bank_mask:0xf
	v_cmp_eq_f32_e32 vcc, v77, v80
	v_cmp_lt_i32_e64 s[2:3], v78, v79
	s_and_b64 vcc, vcc, s[2:3]
	v_cmp_gt_f32_e64 s[2:3], v77, v80
	v_cndmask_b32_e32 v81, v80, v77, vcc
	s_or_b64 vcc, s[2:3], vcc
	v_cndmask_b32_e64 v77, v81, v77, s[2:3]
	v_cndmask_b32_e32 v78, v79, v78, vcc
	s_nop 0
	v_mov_b32_dpp v80, v77 row_half_mirror row_mask:0xf bank_mask:0xf
	v_mov_b32_dpp v79, v78 row_half_mirror row_mask:0xf bank_mask:0xf
	v_min_i32_e32 v81, v78, v79
	v_cmp_eq_f32_e32 vcc, v77, v80
	v_cndmask_b32_e32 v79, v79, v81, vcc
	v_cmp_gt_f32_e32 vcc, v77, v80
	v_cndmask_b32_e32 v77, v79, v78, vcc
	v_ashrrev_i32_e32 v78, 31, v77
	v_lshrrev_b32_e32 v78, 27, v78
	v_add_u32_e32 v78, v77, v78
	v_ashrrev_i32_e32 v78, 5, v78
	v_cmp_eq_u32_e32 vcc, v68, v78
	s_and_saveexec_b64 s[80:81], vcc
	s_cbranch_execz .LBB2_201
; %bb.198:                              ;   in Loop: Header=BB2_195 Depth=1
	v_sub_u32_e32 v78, v77, v75
	v_cmp_eq_u32_e64 s[60:61], 1, v78
	v_cmp_eq_u32_e64 s[62:63], 3, v78
	;; [unrolled: 1-line block ×29, first 2 shown]
	v_cmp_eq_u32_e32 vcc, 31, v78
	v_cmp_eq_u32_e64 s[2:3], 30, v78
	v_cmp_gt_u32_e64 s[66:67], 32, v78
	s_and_saveexec_b64 s[82:83], s[66:67]
	s_cbranch_execz .LBB2_200
; %bb.199:                              ;   in Loop: Header=BB2_195 Depth=1
	v_cndmask_b32_e64 v79, v69, v70, s[60:61]
	v_cndmask_b32_e64 v79, v79, v28, s[64:65]
	v_cndmask_b32_e64 v79, v79, v29, s[62:63]
	v_cndmask_b32_e64 v79, v79, v34, s[58:59]
	v_cndmask_b32_e64 v79, v79, v35, s[56:57]
	v_cndmask_b32_e64 v79, v79, v30, s[54:55]
	v_cndmask_b32_e64 v79, v79, v31, s[52:53]
	v_cndmask_b32_e64 v79, v79, v36, s[50:51]
	v_cndmask_b32_e64 v79, v79, v37, s[48:49]
	v_cndmask_b32_e64 v79, v79, v24, s[46:47]
	v_cndmask_b32_e64 v79, v79, v25, s[44:45]
	v_cndmask_b32_e64 v79, v79, v38, s[42:43]
	v_cndmask_b32_e64 v79, v79, v39, s[40:41]
	v_cndmask_b32_e64 v79, v79, v26, s[38:39]
	v_cndmask_b32_e64 v79, v79, v27, s[36:37]
	v_cndmask_b32_e64 v79, v79, v40, s[34:35]
	v_cndmask_b32_e64 v79, v79, v41, s[30:31]
	v_cndmask_b32_e64 v79, v79, v20, s[28:29]
	v_cndmask_b32_e64 v79, v79, v21, s[26:27]
	v_cndmask_b32_e64 v79, v79, v42, s[24:25]
	v_cndmask_b32_e64 v79, v79, v43, s[22:23]
	v_cndmask_b32_e64 v79, v79, v22, s[20:21]
	v_cndmask_b32_e64 v79, v79, v23, s[18:19]
	v_cndmask_b32_e64 v79, v79, v44, s[16:17]
	v_cndmask_b32_e64 v79, v79, v45, s[14:15]
	v_cndmask_b32_e64 v79, v79, v16, s[12:13]
	v_cndmask_b32_e64 v79, v79, v17, s[10:11]
	v_cndmask_b32_e64 v79, v79, v46, s[8:9]
	v_cndmask_b32_e64 v79, v79, v47, s[6:7]
	v_cndmask_b32_e64 v79, v79, v18, s[2:3]
	v_cndmask_b32_e32 v79, v79, v19, vcc
	flat_store_dword v[66:67], v79
.LBB2_200:                              ;   in Loop: Header=BB2_195 Depth=1
	s_or_b64 exec, exec, s[82:83]
	v_cmp_ne_u32_e64 s[66:67], 0, v78
	v_cndmask_b32_e64 v71, v76, v71, s[66:67]
	v_cndmask_b32_e64 v72, v72, v76, s[60:61]
	;; [unrolled: 1-line block ×30, first 2 shown]
	v_cndmask_b32_e32 v3, v3, v76, vcc
	v_cndmask_b32_e64 v2, v2, v76, s[2:3]
	global_store_dword v[64:65], v77, off
.LBB2_201:                              ;   in Loop: Header=BB2_195 Depth=1
	s_or_b64 exec, exec, s[80:81]
	s_waitcnt lgkmcnt(0)
	s_barrier
	s_and_saveexec_b64 s[2:3], s[0:1]
	s_cbranch_execz .LBB2_194
; %bb.202:                              ;   in Loop: Header=BB2_195 Depth=1
	flat_load_dword v77, v[66:67]
	s_waitcnt vmcnt(0) lgkmcnt(0)
	v_add_f32_e32 v73, v73, v77
	s_branch .LBB2_194
.LBB2_203:
	v_mov_b32_e32 v73, 0
.LBB2_204:
	v_cmp_eq_u32_e64 s[0:1], 0, v68
	v_cmp_gt_i64_e64 s[2:3], s[78:79], 0
	s_and_b64 s[6:7], s[0:1], s[2:3]
	s_and_saveexec_b64 s[2:3], s[6:7]
	s_cbranch_execz .LBB2_217
; %bb.205:
	v_cmp_le_u64_e32 vcc, s[78:79], v[32:33]
	v_pk_mov_b32 v[0:1], v[32:33], v[32:33] op_sel:[0,1]
	s_and_saveexec_b64 s[6:7], vcc
	s_cbranch_execz .LBB2_207
; %bb.206:
	v_cvt_f32_u32_e32 v0, s78
	s_sub_i32 s8, 0, s78
	v_rcp_iflag_f32_e32 v0, v0
	v_mul_f32_e32 v0, 0x4f7ffffe, v0
	v_cvt_u32_f32_e32 v0, v0
	v_mul_lo_u32 v1, s8, v0
	v_mul_hi_u32 v1, v0, v1
	v_add_u32_e32 v0, v0, v1
	v_mul_hi_u32 v0, v32, v0
	v_mul_lo_u32 v0, v0, s78
	v_sub_u32_e32 v0, v32, v0
	v_subrev_u32_e32 v1, s78, v0
	v_cmp_le_u32_e32 vcc, s78, v0
	v_cndmask_b32_e32 v0, v0, v1, vcc
	v_subrev_u32_e32 v1, s78, v0
	v_cmp_le_u32_e32 vcc, s78, v0
	v_cndmask_b32_e32 v0, v0, v1, vcc
	v_mov_b32_e32 v1, 0
.LBB2_207:
	s_or_b64 exec, exec, s[6:7]
	s_load_dwordx2 s[4:5], s[4:5], 0x40
	v_pk_mov_b32 v[2:3], s[72:73], s[72:73] op_sel:[0,1]
	s_waitcnt lgkmcnt(0)
	v_mad_u64_u32 v[10:11], s[6:7], s33, v32, v[2:3]
	s_ashr_i32 s8, s33, 31
	v_mov_b32_e32 v2, v11
	v_cvt_f64_f32_e32 v[8:9], v73
	v_mad_u64_u32 v[2:3], s[6:7], s8, v32, v[2:3]
	v_div_scale_f64 v[12:13], s[6:7], s[4:5], s[4:5], v[8:9]
	v_mov_b32_e32 v11, v2
	v_rcp_f64_e32 v[14:15], v[12:13]
	v_lshlrev_b64 v[2:3], 2, v[10:11]
	v_mov_b32_e32 v5, s71
	v_add_co_u32_e32 v4, vcc, s70, v2
	v_add_u32_e32 v16, 0x100, v0
	v_addc_co_u32_e32 v5, vcc, v5, v3, vcc
	global_store_dword v[4:5], v16, off
	v_fma_f64 v[16:17], -v[12:13], v[14:15], 1.0
	v_fmac_f64_e32 v[14:15], v[14:15], v[16:17]
	v_fma_f64 v[16:17], -v[12:13], v[14:15], 1.0
	v_fmac_f64_e32 v[14:15], v[14:15], v[16:17]
	v_div_scale_f64 v[16:17], vcc, v[8:9], s[4:5], v[8:9]
	v_mul_f64 v[18:19], v[16:17], v[14:15]
	v_fma_f64 v[12:13], -v[12:13], v[18:19], v[16:17]
	s_nop 1
	v_div_fmas_f64 v[12:13], v[12:13], v[14:15], v[18:19]
	v_div_fixup_f64 v[8:9], v[12:13], s[4:5], v[8:9]
	v_cvt_f32_f64_e32 v8, v[8:9]
	v_mov_b32_e32 v9, s69
	v_add_co_u32_e32 v14, vcc, s68, v2
	v_addc_co_u32_e32 v15, vcc, v9, v3, vcc
	v_cmp_lt_u64_e64 s[4:5], s[78:79], 2
	s_and_b64 vcc, exec, s[4:5]
	global_store_dword v[14:15], v8, off
	s_cbranch_vccnz .LBB2_217
; %bb.208:
	s_cmp_eq_u64 s[78:79], 2
	s_cbranch_scc1 .LBB2_213
; %bb.209:
	v_add_co_u32_e32 v2, vcc, 1, v0
	v_addc_co_u32_e32 v3, vcc, 0, v1, vcc
	s_add_u32 s4, s78, -1
	v_add_co_u32_e32 v12, vcc, 4, v4
	s_addc_u32 s5, s79, -1
	v_addc_co_u32_e32 v13, vcc, 0, v5, vcc
	s_and_b32 s6, s4, -2
	s_mov_b32 s7, s5
	v_add_co_u32_e32 v14, vcc, 4, v14
	v_pk_mov_b32 v[4:5], v[2:3], v[2:3] op_sel:[0,1]
	v_mov_b32_e32 v9, v8
	v_addc_co_u32_e32 v15, vcc, 0, v15, vcc
	s_mov_b64 s[8:9], s[6:7]
	v_pk_mov_b32 v[2:3], v[0:1], v[0:1] op_sel:[0,1]
.LBB2_210:                              ; =>This Inner Loop Header: Depth=1
	v_add_u32_e32 v17, 0x101, v4
	v_add_co_u32_e32 v4, vcc, 2, v4
	v_addc_co_u32_e32 v5, vcc, 0, v5, vcc
	v_add_u32_e32 v16, 0x101, v2
	v_add_co_u32_e32 v2, vcc, 2, v2
	v_addc_co_u32_e32 v3, vcc, 0, v3, vcc
	global_store_dwordx2 v[14:15], v[8:9], off
	v_add_co_u32_e32 v14, vcc, 8, v14
	v_addc_co_u32_e32 v15, vcc, 0, v15, vcc
	s_add_u32 s8, s8, -2
	global_store_dwordx2 v[12:13], v[16:17], off
	s_addc_u32 s9, s9, -1
	v_add_co_u32_e32 v12, vcc, 8, v12
	s_cmp_lg_u64 s[8:9], 0
	v_addc_co_u32_e32 v13, vcc, 0, v13, vcc
	s_cbranch_scc1 .LBB2_210
; %bb.211:
	s_cmp_eq_u64 s[4:5], s[6:7]
	s_cbranch_scc1 .LBB2_214
; %bb.212:
	v_mov_b32_e32 v1, s7
	v_add_co_u32_e32 v10, vcc, s6, v10
	s_or_b32 s4, s4, 1
	v_add_u32_e32 v0, s6, v0
	v_addc_co_u32_e32 v11, vcc, v11, v1, vcc
	s_cbranch_execnz .LBB2_215
	s_branch .LBB2_217
.LBB2_213:
	s_mov_b32 s4, 1
	s_cbranch_execnz .LBB2_215
	s_branch .LBB2_217
.LBB2_214:
	s_mov_b32 s4, 1
                                        ; implicit-def: $vgpr10_vgpr11
                                        ; implicit-def: $vgpr0
	s_branch .LBB2_217
.LBB2_215:
	v_add_u32_e32 v9, 0x101, v0
	v_lshlrev_b64 v[0:1], 2, v[10:11]
	v_add_co_u32_e32 v2, vcc, 4, v0
	v_addc_co_u32_e32 v3, vcc, 0, v1, vcc
	v_mov_b32_e32 v1, s69
	v_add_co_u32_e32 v0, vcc, s68, v2
	v_addc_co_u32_e32 v1, vcc, v1, v3, vcc
	v_mov_b32_e32 v4, s71
	v_add_co_u32_e32 v2, vcc, s70, v2
	s_mov_b32 s5, 0
	v_addc_co_u32_e32 v3, vcc, v4, v3, vcc
	v_pk_mov_b32 v[4:5], s[78:79], s[78:79] op_sel:[0,1]
.LBB2_216:                              ; =>This Inner Loop Header: Depth=1
	global_store_dword v[2:3], v9, off
	global_store_dword v[0:1], v8, off
	v_add_co_u32_e32 v0, vcc, 4, v0
	v_addc_co_u32_e32 v1, vcc, 0, v1, vcc
	s_add_u32 s4, s4, 1
	v_add_co_u32_e32 v2, vcc, 4, v2
	v_addc_co_u32_e32 v3, vcc, 0, v3, vcc
	s_addc_u32 s5, s5, 0
	v_cmp_lt_u64_e32 vcc, s[4:5], v[4:5]
	v_add_u32_e32 v9, 1, v9
	s_cbranch_vccnz .LBB2_216
.LBB2_217:
	s_or_b64 exec, exec, s[2:3]
	v_cmp_gt_i64_e64 s[4:5], s[76:77], 0
	s_mov_b64 s[2:3], 0
	s_and_b64 s[0:1], s[0:1], s[4:5]
	s_waitcnt lgkmcnt(0)
	s_barrier
	s_and_b64 exec, exec, s[0:1]
	s_cbranch_execz .LBB2_224
; %bb.218:
	v_mad_u64_u32 v[0:1], s[0:1], s33, v32, 0
	s_ashr_i32 s4, s33, 31
	v_mov_b32_e32 v2, v1
	v_mad_u64_u32 v[2:3], s[0:1], s4, v32, v[2:3]
	v_mov_b32_e32 v1, v2
	v_lshlrev_b64 v[0:1], 2, v[0:1]
	v_mov_b32_e32 v2, s69
	v_add_co_u32_e32 v4, vcc, s68, v0
	v_addc_co_u32_e32 v5, vcc, v2, v1, vcc
	v_cmp_lt_u64_e64 s[0:1], s[76:77], 8
	s_and_b64 vcc, exec, s[0:1]
	s_cbranch_vccnz .LBB2_221
; %bb.219:
	s_and_b32 s3, s77, 0x7fffffff
	s_and_b32 s2, s76, -8
	s_mov_b64 s[0:1], 0
	s_mov_b64 s[4:5], s[2:3]
.LBB2_220:                              ; =>This Inner Loop Header: Depth=1
	v_mov_b32_e32 v1, s1
	v_add_co_u32_e32 v2, vcc, s0, v6
	v_addc_co_u32_e32 v3, vcc, v7, v1, vcc
	flat_load_dword v8, v[2:3]
	v_add_co_u32_e32 v0, vcc, s0, v4
	v_addc_co_u32_e32 v1, vcc, v5, v1, vcc
	s_add_u32 s0, s0, 32
	s_addc_u32 s1, s1, 0
	s_add_u32 s4, s4, -8
	s_addc_u32 s5, s5, -1
	s_cmp_lg_u64 s[4:5], 0
	s_waitcnt vmcnt(0) lgkmcnt(0)
	v_div_scale_f32 v9, s[6:7], v73, v73, v8
	v_rcp_f32_e32 v11, v9
	v_div_scale_f32 v10, vcc, v8, v73, v8
	v_fma_f32 v12, -v9, v11, 1.0
	v_fmac_f32_e32 v11, v12, v11
	v_mul_f32_e32 v12, v10, v11
	v_fma_f32 v13, -v9, v12, v10
	v_fmac_f32_e32 v12, v13, v11
	v_fma_f32 v9, -v9, v12, v10
	v_div_fmas_f32 v9, v9, v11, v12
	v_div_fixup_f32 v8, v9, v73, v8
	global_store_dword v[0:1], v8, off
	flat_load_dword v8, v[2:3] offset:4
	s_waitcnt vmcnt(0) lgkmcnt(0)
	v_div_scale_f32 v9, s[6:7], v73, v73, v8
	v_rcp_f32_e32 v11, v9
	v_div_scale_f32 v10, vcc, v8, v73, v8
	v_fma_f32 v12, -v9, v11, 1.0
	v_fmac_f32_e32 v11, v12, v11
	v_mul_f32_e32 v12, v10, v11
	v_fma_f32 v13, -v9, v12, v10
	v_fmac_f32_e32 v12, v13, v11
	v_fma_f32 v9, -v9, v12, v10
	v_div_fmas_f32 v9, v9, v11, v12
	v_div_fixup_f32 v8, v9, v73, v8
	global_store_dword v[0:1], v8, off offset:4
	flat_load_dword v8, v[2:3] offset:8
	s_waitcnt vmcnt(0) lgkmcnt(0)
	v_div_scale_f32 v9, s[6:7], v73, v73, v8
	v_rcp_f32_e32 v11, v9
	v_div_scale_f32 v10, vcc, v8, v73, v8
	v_fma_f32 v12, -v9, v11, 1.0
	v_fmac_f32_e32 v11, v12, v11
	v_mul_f32_e32 v12, v10, v11
	v_fma_f32 v13, -v9, v12, v10
	v_fmac_f32_e32 v12, v13, v11
	v_fma_f32 v9, -v9, v12, v10
	v_div_fmas_f32 v9, v9, v11, v12
	v_div_fixup_f32 v8, v9, v73, v8
	global_store_dword v[0:1], v8, off offset:8
	;; [unrolled: 14-line block ×7, first 2 shown]
	s_cbranch_scc1 .LBB2_220
.LBB2_221:
	s_and_b32 s0, s76, 7
	s_mov_b32 s1, 0
	s_cmp_eq_u64 s[0:1], 0
	s_cbranch_scc1 .LBB2_224
; %bb.222:
	s_mov_b64 s[4:5], s[0:1]
.LBB2_223:                              ; =>This Inner Loop Header: Depth=1
	s_lshl_b64 s[6:7], s[2:3], 2
	v_mov_b32_e32 v2, s7
	v_add_co_u32_e32 v0, vcc, s6, v6
	v_addc_co_u32_e32 v1, vcc, v7, v2, vcc
	flat_load_dword v3, v[0:1]
	v_add_co_u32_e32 v0, vcc, s6, v4
	v_addc_co_u32_e32 v1, vcc, v5, v2, vcc
	s_add_i32 s0, s2, 1
	s_add_u32 s4, s4, -1
	s_addc_u32 s5, s5, -1
	s_mov_b64 s[2:3], s[0:1]
	s_cmp_lg_u64 s[4:5], 0
	s_waitcnt vmcnt(0) lgkmcnt(0)
	v_div_scale_f32 v2, s[6:7], v73, v73, v3
	v_rcp_f32_e32 v8, v2
	v_div_scale_f32 v9, vcc, v3, v73, v3
	v_fma_f32 v10, -v2, v8, 1.0
	v_fmac_f32_e32 v8, v10, v8
	v_mul_f32_e32 v10, v9, v8
	v_fma_f32 v11, -v2, v10, v9
	v_fmac_f32_e32 v10, v11, v8
	v_fma_f32 v2, -v2, v10, v9
	v_div_fmas_f32 v2, v2, v8, v10
	v_div_fixup_f32 v2, v2, v73, v3
	global_store_dword v[0:1], v2, off
	s_cbranch_scc1 .LBB2_223
.LBB2_224:
	s_endpgm
	.section	.rodata,"a",@progbits
	.p2align	6, 0x0
	.amdhsa_kernel _Z21moe_fused_gate_kernelIDF16_Li32ELi256ELi8ELi1EEvPvS0_PfPilllldi
		.amdhsa_group_segment_fixed_size 0
		.amdhsa_private_segment_fixed_size 0
		.amdhsa_kernarg_size 76
		.amdhsa_user_sgpr_count 6
		.amdhsa_user_sgpr_private_segment_buffer 1
		.amdhsa_user_sgpr_dispatch_ptr 0
		.amdhsa_user_sgpr_queue_ptr 0
		.amdhsa_user_sgpr_kernarg_segment_ptr 1
		.amdhsa_user_sgpr_dispatch_id 0
		.amdhsa_user_sgpr_flat_scratch_init 0
		.amdhsa_user_sgpr_kernarg_preload_length 0
		.amdhsa_user_sgpr_kernarg_preload_offset 0
		.amdhsa_user_sgpr_private_segment_size 0
		.amdhsa_uses_dynamic_stack 0
		.amdhsa_system_sgpr_private_segment_wavefront_offset 0
		.amdhsa_system_sgpr_workgroup_id_x 1
		.amdhsa_system_sgpr_workgroup_id_y 0
		.amdhsa_system_sgpr_workgroup_id_z 0
		.amdhsa_system_sgpr_workgroup_info 0
		.amdhsa_system_vgpr_workitem_id 1
		.amdhsa_next_free_vgpr 82
		.amdhsa_next_free_sgpr 85
		.amdhsa_accum_offset 84
		.amdhsa_reserve_vcc 1
		.amdhsa_reserve_flat_scratch 0
		.amdhsa_float_round_mode_32 0
		.amdhsa_float_round_mode_16_64 0
		.amdhsa_float_denorm_mode_32 3
		.amdhsa_float_denorm_mode_16_64 3
		.amdhsa_dx10_clamp 1
		.amdhsa_ieee_mode 1
		.amdhsa_fp16_overflow 0
		.amdhsa_tg_split 0
		.amdhsa_exception_fp_ieee_invalid_op 0
		.amdhsa_exception_fp_denorm_src 0
		.amdhsa_exception_fp_ieee_div_zero 0
		.amdhsa_exception_fp_ieee_overflow 0
		.amdhsa_exception_fp_ieee_underflow 0
		.amdhsa_exception_fp_ieee_inexact 0
		.amdhsa_exception_int_div_zero 0
	.end_amdhsa_kernel
	.section	.text._Z21moe_fused_gate_kernelIDF16_Li32ELi256ELi8ELi1EEvPvS0_PfPilllldi,"axG",@progbits,_Z21moe_fused_gate_kernelIDF16_Li32ELi256ELi8ELi1EEvPvS0_PfPilllldi,comdat
.Lfunc_end2:
	.size	_Z21moe_fused_gate_kernelIDF16_Li32ELi256ELi8ELi1EEvPvS0_PfPilllldi, .Lfunc_end2-_Z21moe_fused_gate_kernelIDF16_Li32ELi256ELi8ELi1EEvPvS0_PfPilllldi
                                        ; -- End function
	.section	.AMDGPU.csdata,"",@progbits
; Kernel info:
; codeLenInByte = 12624
; NumSgprs: 89
; NumVgprs: 82
; NumAgprs: 0
; TotalNumVgprs: 82
; ScratchSize: 0
; MemoryBound: 1
; FloatMode: 240
; IeeeMode: 1
; LDSByteSize: 0 bytes/workgroup (compile time only)
; SGPRBlocks: 11
; VGPRBlocks: 10
; NumSGPRsForWavesPerEU: 89
; NumVGPRsForWavesPerEU: 82
; AccumOffset: 84
; Occupancy: 5
; WaveLimiterHint : 0
; COMPUTE_PGM_RSRC2:SCRATCH_EN: 0
; COMPUTE_PGM_RSRC2:USER_SGPR: 6
; COMPUTE_PGM_RSRC2:TRAP_HANDLER: 0
; COMPUTE_PGM_RSRC2:TGID_X_EN: 1
; COMPUTE_PGM_RSRC2:TGID_Y_EN: 0
; COMPUTE_PGM_RSRC2:TGID_Z_EN: 0
; COMPUTE_PGM_RSRC2:TIDIG_COMP_CNT: 1
; COMPUTE_PGM_RSRC3_GFX90A:ACCUM_OFFSET: 20
; COMPUTE_PGM_RSRC3_GFX90A:TG_SPLIT: 0
	.section	.text._Z21moe_fused_gate_kernelIfLi32ELi256ELi8ELi1EEvPvS0_PfPilllldi,"axG",@progbits,_Z21moe_fused_gate_kernelIfLi32ELi256ELi8ELi1EEvPvS0_PfPilllldi,comdat
	.protected	_Z21moe_fused_gate_kernelIfLi32ELi256ELi8ELi1EEvPvS0_PfPilllldi ; -- Begin function _Z21moe_fused_gate_kernelIfLi32ELi256ELi8ELi1EEvPvS0_PfPilllldi
	.globl	_Z21moe_fused_gate_kernelIfLi32ELi256ELi8ELi1EEvPvS0_PfPilllldi
	.p2align	8
	.type	_Z21moe_fused_gate_kernelIfLi32ELi256ELi8ELi1EEvPvS0_PfPilllldi,@function
_Z21moe_fused_gate_kernelIfLi32ELi256ELi8ELi1EEvPvS0_PfPilllldi: ; @_Z21moe_fused_gate_kernelIfLi32ELi256ELi8ELi1EEvPvS0_PfPilllldi
; %bb.0:
	s_load_dwordx16 s[64:79], s[4:5], 0x0
	v_and_b32_e32 v1, 0x3ff, v0
	v_bfe_u32 v0, v0, 10, 10
	v_add_u32_e32 v0, s6, v0
	v_lshrrev_b32_e32 v69, 3, v1
	v_mov_b32_e32 v67, 0
	v_lshl_add_u32 v64, v0, 3, v69
	v_mov_b32_e32 v65, v67
	s_waitcnt lgkmcnt(0)
	v_cmp_gt_i64_e32 vcc, s[72:73], v[64:65]
	s_and_saveexec_b64 s[0:1], vcc
	s_cbranch_execz .LBB3_224
; %bb.1:
	v_lshlrev_b64 v[2:3], 10, v[64:65]
	v_mov_b32_e32 v0, s65
	v_add_co_u32_e32 v2, vcc, s64, v2
	v_and_b32_e32 v66, 7, v1
	v_addc_co_u32_e32 v0, vcc, v0, v3, vcc
	v_lshlrev_b32_e32 v28, 7, v66
	v_add_co_u32_e32 v24, vcc, v2, v28
	v_addc_co_u32_e32 v25, vcc, 0, v0, vcc
	global_load_dwordx4 v[60:63], v[24:25], off
	global_load_dwordx4 v[56:59], v[24:25], off offset:16
	global_load_dwordx4 v[0:3], v28, s[66:67] offset:112
	global_load_dwordx4 v[4:7], v28, s[66:67] offset:96
	;; [unrolled: 1-line block ×6, first 2 shown]
	global_load_dwordx4 v[32:35], v[24:25], off offset:112
	global_load_dwordx4 v[36:39], v[24:25], off offset:96
	;; [unrolled: 1-line block ×6, first 2 shown]
                                        ; kill: killed $vgpr24 killed $vgpr25
	s_nop 0
	global_load_dwordx4 v[24:27], v28, s[66:67] offset:16
	s_nop 0
	global_load_dwordx4 v[28:31], v28, s[66:67]
	s_waitcnt vmcnt(15)
	v_cmp_o_f32_e32 vcc, v60, v60
	s_and_saveexec_b64 s[0:1], vcc
	s_cbranch_execz .LBB3_3
; %bb.2:
	v_mul_f32_e32 v67, 0xbfb8aa3b, v60
	s_mov_b32 s2, 0xbfb8aa3b
	v_rndne_f32_e32 v68, v67
	v_sub_f32_e32 v70, v67, v68
	v_fma_f32 v67, v60, s2, -v67
	v_fmac_f32_e32 v67, 0xb2a5705f, v60
	v_add_f32_e32 v67, v70, v67
	v_exp_f32_e32 v67, v67
	v_cvt_i32_f32_e32 v68, v68
	s_mov_b32 s2, 0x42ce8ed0
	v_cmp_nlt_f32_e32 vcc, s2, v60
	s_mov_b32 s2, 0xc2b17218
	v_ldexp_f32 v67, v67, v68
	v_cndmask_b32_e32 v67, 0, v67, vcc
	v_mov_b32_e32 v68, 0x7f800000
	v_cmp_ngt_f32_e32 vcc, s2, v60
	v_cndmask_b32_e32 v60, v68, v67, vcc
	v_add_f32_e32 v60, 1.0, v60
	v_div_scale_f32 v67, s[2:3], v60, v60, 1.0
	v_rcp_f32_e32 v68, v67
	v_fma_f32 v70, -v67, v68, 1.0
	v_fmac_f32_e32 v68, v70, v68
	v_div_scale_f32 v70, vcc, 1.0, v60, 1.0
	v_mul_f32_e32 v71, v70, v68
	v_fma_f32 v72, -v67, v71, v70
	v_fmac_f32_e32 v71, v72, v68
	v_fma_f32 v67, -v67, v71, v70
	v_div_fmas_f32 v67, v67, v68, v71
	v_div_fixup_f32 v67, v67, v60, 1.0
.LBB3_3:
	s_or_b64 exec, exec, s[0:1]
	v_cmp_o_f32_e32 vcc, v61, v61
	v_mov_b32_e32 v60, 0
	v_mov_b32_e32 v68, 0
	s_and_saveexec_b64 s[0:1], vcc
	s_cbranch_execz .LBB3_5
; %bb.4:
	v_mul_f32_e32 v68, 0xbfb8aa3b, v61
	s_mov_b32 s2, 0xbfb8aa3b
	v_rndne_f32_e32 v70, v68
	v_sub_f32_e32 v71, v68, v70
	v_fma_f32 v68, v61, s2, -v68
	v_fmac_f32_e32 v68, 0xb2a5705f, v61
	v_add_f32_e32 v68, v71, v68
	v_exp_f32_e32 v68, v68
	v_cvt_i32_f32_e32 v70, v70
	s_mov_b32 s2, 0x42ce8ed0
	v_cmp_nlt_f32_e32 vcc, s2, v61
	s_mov_b32 s2, 0xc2b17218
	v_ldexp_f32 v68, v68, v70
	v_cndmask_b32_e32 v68, 0, v68, vcc
	v_mov_b32_e32 v70, 0x7f800000
	v_cmp_ngt_f32_e32 vcc, s2, v61
	v_cndmask_b32_e32 v61, v70, v68, vcc
	v_add_f32_e32 v61, 1.0, v61
	v_div_scale_f32 v68, s[2:3], v61, v61, 1.0
	v_rcp_f32_e32 v70, v68
	v_fma_f32 v71, -v68, v70, 1.0
	v_fmac_f32_e32 v70, v71, v70
	v_div_scale_f32 v71, vcc, 1.0, v61, 1.0
	v_mul_f32_e32 v72, v71, v70
	v_fma_f32 v73, -v68, v72, v71
	v_fmac_f32_e32 v72, v73, v70
	v_fma_f32 v68, -v68, v72, v71
	v_div_fmas_f32 v68, v68, v70, v72
	v_div_fixup_f32 v68, v68, v61, 1.0
.LBB3_5:
	s_or_b64 exec, exec, s[0:1]
	v_cmp_o_f32_e32 vcc, v62, v62
	s_and_saveexec_b64 s[0:1], vcc
	s_cbranch_execz .LBB3_7
; %bb.6:
	v_mul_f32_e32 v60, 0xbfb8aa3b, v62
	s_mov_b32 s2, 0xbfb8aa3b
	v_rndne_f32_e32 v61, v60
	v_sub_f32_e32 v70, v60, v61
	v_fma_f32 v60, v62, s2, -v60
	v_fmac_f32_e32 v60, 0xb2a5705f, v62
	v_add_f32_e32 v60, v70, v60
	v_exp_f32_e32 v60, v60
	v_cvt_i32_f32_e32 v61, v61
	s_mov_b32 s2, 0x42ce8ed0
	v_cmp_nlt_f32_e32 vcc, s2, v62
	s_mov_b32 s2, 0xc2b17218
	v_ldexp_f32 v60, v60, v61
	v_cndmask_b32_e32 v60, 0, v60, vcc
	v_mov_b32_e32 v61, 0x7f800000
	v_cmp_ngt_f32_e32 vcc, s2, v62
	v_cndmask_b32_e32 v60, v61, v60, vcc
	v_add_f32_e32 v60, 1.0, v60
	v_div_scale_f32 v61, s[2:3], v60, v60, 1.0
	v_rcp_f32_e32 v62, v61
	v_fma_f32 v70, -v61, v62, 1.0
	v_fmac_f32_e32 v62, v70, v62
	v_div_scale_f32 v70, vcc, 1.0, v60, 1.0
	v_mul_f32_e32 v71, v70, v62
	v_fma_f32 v72, -v61, v71, v70
	v_fmac_f32_e32 v71, v72, v62
	v_fma_f32 v61, -v61, v71, v70
	v_div_fmas_f32 v61, v61, v62, v71
	v_div_fixup_f32 v60, v61, v60, 1.0
.LBB3_7:
	s_or_b64 exec, exec, s[0:1]
	v_cmp_o_f32_e32 vcc, v63, v63
	v_mov_b32_e32 v61, 0
	v_mov_b32_e32 v62, 0
	s_and_saveexec_b64 s[0:1], vcc
	s_cbranch_execz .LBB3_9
; %bb.8:
	v_mul_f32_e32 v62, 0xbfb8aa3b, v63
	s_mov_b32 s2, 0xbfb8aa3b
	v_rndne_f32_e32 v70, v62
	v_sub_f32_e32 v71, v62, v70
	v_fma_f32 v62, v63, s2, -v62
	v_fmac_f32_e32 v62, 0xb2a5705f, v63
	v_add_f32_e32 v62, v71, v62
	v_exp_f32_e32 v62, v62
	v_cvt_i32_f32_e32 v70, v70
	s_mov_b32 s2, 0x42ce8ed0
	v_cmp_nlt_f32_e32 vcc, s2, v63
	s_mov_b32 s2, 0xc2b17218
	v_ldexp_f32 v62, v62, v70
	v_cndmask_b32_e32 v62, 0, v62, vcc
	v_mov_b32_e32 v70, 0x7f800000
	v_cmp_ngt_f32_e32 vcc, s2, v63
	v_cndmask_b32_e32 v62, v70, v62, vcc
	v_add_f32_e32 v62, 1.0, v62
	v_div_scale_f32 v63, s[2:3], v62, v62, 1.0
	v_rcp_f32_e32 v70, v63
	v_fma_f32 v71, -v63, v70, 1.0
	v_fmac_f32_e32 v70, v71, v70
	v_div_scale_f32 v71, vcc, 1.0, v62, 1.0
	v_mul_f32_e32 v72, v71, v70
	v_fma_f32 v73, -v63, v72, v71
	v_fmac_f32_e32 v72, v73, v70
	v_fma_f32 v63, -v63, v72, v71
	v_div_fmas_f32 v63, v63, v70, v72
	v_div_fixup_f32 v62, v63, v62, 1.0
.LBB3_9:
	s_or_b64 exec, exec, s[0:1]
	s_waitcnt vmcnt(14)
	v_cmp_o_f32_e32 vcc, v56, v56
	s_and_saveexec_b64 s[0:1], vcc
	s_cbranch_execz .LBB3_11
; %bb.10:
	v_mul_f32_e32 v61, 0xbfb8aa3b, v56
	s_mov_b32 s2, 0xbfb8aa3b
	v_rndne_f32_e32 v63, v61
	v_sub_f32_e32 v70, v61, v63
	v_fma_f32 v61, v56, s2, -v61
	v_fmac_f32_e32 v61, 0xb2a5705f, v56
	v_add_f32_e32 v61, v70, v61
	v_exp_f32_e32 v61, v61
	v_cvt_i32_f32_e32 v63, v63
	s_mov_b32 s2, 0x42ce8ed0
	v_cmp_nlt_f32_e32 vcc, s2, v56
	s_mov_b32 s2, 0xc2b17218
	v_ldexp_f32 v61, v61, v63
	v_cndmask_b32_e32 v61, 0, v61, vcc
	v_mov_b32_e32 v63, 0x7f800000
	v_cmp_ngt_f32_e32 vcc, s2, v56
	v_cndmask_b32_e32 v56, v63, v61, vcc
	v_add_f32_e32 v56, 1.0, v56
	v_div_scale_f32 v61, s[2:3], v56, v56, 1.0
	v_rcp_f32_e32 v63, v61
	v_fma_f32 v70, -v61, v63, 1.0
	v_fmac_f32_e32 v63, v70, v63
	v_div_scale_f32 v70, vcc, 1.0, v56, 1.0
	v_mul_f32_e32 v71, v70, v63
	v_fma_f32 v72, -v61, v71, v70
	v_fmac_f32_e32 v71, v72, v63
	v_fma_f32 v61, -v61, v71, v70
	v_div_fmas_f32 v61, v61, v63, v71
	v_div_fixup_f32 v61, v61, v56, 1.0
.LBB3_11:
	s_or_b64 exec, exec, s[0:1]
	v_cmp_o_f32_e32 vcc, v57, v57
	v_mov_b32_e32 v56, 0
	v_mov_b32_e32 v63, 0
	s_and_saveexec_b64 s[0:1], vcc
	s_cbranch_execz .LBB3_13
; %bb.12:
	v_mul_f32_e32 v63, 0xbfb8aa3b, v57
	s_mov_b32 s2, 0xbfb8aa3b
	v_rndne_f32_e32 v70, v63
	v_sub_f32_e32 v71, v63, v70
	v_fma_f32 v63, v57, s2, -v63
	v_fmac_f32_e32 v63, 0xb2a5705f, v57
	v_add_f32_e32 v63, v71, v63
	v_exp_f32_e32 v63, v63
	v_cvt_i32_f32_e32 v70, v70
	s_mov_b32 s2, 0x42ce8ed0
	v_cmp_nlt_f32_e32 vcc, s2, v57
	s_mov_b32 s2, 0xc2b17218
	v_ldexp_f32 v63, v63, v70
	v_cndmask_b32_e32 v63, 0, v63, vcc
	v_mov_b32_e32 v70, 0x7f800000
	v_cmp_ngt_f32_e32 vcc, s2, v57
	v_cndmask_b32_e32 v57, v70, v63, vcc
	v_add_f32_e32 v57, 1.0, v57
	v_div_scale_f32 v63, s[2:3], v57, v57, 1.0
	v_rcp_f32_e32 v70, v63
	v_fma_f32 v71, -v63, v70, 1.0
	v_fmac_f32_e32 v70, v71, v70
	v_div_scale_f32 v71, vcc, 1.0, v57, 1.0
	v_mul_f32_e32 v72, v71, v70
	v_fma_f32 v73, -v63, v72, v71
	v_fmac_f32_e32 v72, v73, v70
	v_fma_f32 v63, -v63, v72, v71
	v_div_fmas_f32 v63, v63, v70, v72
	v_div_fixup_f32 v63, v63, v57, 1.0
.LBB3_13:
	s_or_b64 exec, exec, s[0:1]
	v_cmp_o_f32_e32 vcc, v58, v58
	s_and_saveexec_b64 s[0:1], vcc
	s_cbranch_execz .LBB3_15
; %bb.14:
	v_mul_f32_e32 v56, 0xbfb8aa3b, v58
	s_mov_b32 s2, 0xbfb8aa3b
	v_rndne_f32_e32 v57, v56
	v_sub_f32_e32 v70, v56, v57
	v_fma_f32 v56, v58, s2, -v56
	v_fmac_f32_e32 v56, 0xb2a5705f, v58
	v_add_f32_e32 v56, v70, v56
	v_exp_f32_e32 v56, v56
	v_cvt_i32_f32_e32 v57, v57
	s_mov_b32 s2, 0x42ce8ed0
	v_cmp_nlt_f32_e32 vcc, s2, v58
	s_mov_b32 s2, 0xc2b17218
	v_ldexp_f32 v56, v56, v57
	v_cndmask_b32_e32 v56, 0, v56, vcc
	v_mov_b32_e32 v57, 0x7f800000
	v_cmp_ngt_f32_e32 vcc, s2, v58
	v_cndmask_b32_e32 v56, v57, v56, vcc
	v_add_f32_e32 v56, 1.0, v56
	v_div_scale_f32 v57, s[2:3], v56, v56, 1.0
	v_rcp_f32_e32 v58, v57
	v_fma_f32 v70, -v57, v58, 1.0
	v_fmac_f32_e32 v58, v70, v58
	v_div_scale_f32 v70, vcc, 1.0, v56, 1.0
	v_mul_f32_e32 v71, v70, v58
	v_fma_f32 v72, -v57, v71, v70
	v_fmac_f32_e32 v71, v72, v58
	v_fma_f32 v57, -v57, v71, v70
	v_div_fmas_f32 v57, v57, v58, v71
	v_div_fixup_f32 v56, v57, v56, 1.0
.LBB3_15:
	s_or_b64 exec, exec, s[0:1]
	v_cmp_o_f32_e32 vcc, v59, v59
	v_mov_b32_e32 v57, 0
	v_mov_b32_e32 v58, 0
	s_and_saveexec_b64 s[0:1], vcc
	s_cbranch_execz .LBB3_17
; %bb.16:
	v_mul_f32_e32 v58, 0xbfb8aa3b, v59
	s_mov_b32 s2, 0xbfb8aa3b
	v_rndne_f32_e32 v70, v58
	v_sub_f32_e32 v71, v58, v70
	v_fma_f32 v58, v59, s2, -v58
	v_fmac_f32_e32 v58, 0xb2a5705f, v59
	v_add_f32_e32 v58, v71, v58
	v_exp_f32_e32 v58, v58
	v_cvt_i32_f32_e32 v70, v70
	s_mov_b32 s2, 0x42ce8ed0
	v_cmp_nlt_f32_e32 vcc, s2, v59
	s_mov_b32 s2, 0xc2b17218
	v_ldexp_f32 v58, v58, v70
	v_cndmask_b32_e32 v58, 0, v58, vcc
	v_mov_b32_e32 v70, 0x7f800000
	v_cmp_ngt_f32_e32 vcc, s2, v59
	v_cndmask_b32_e32 v58, v70, v58, vcc
	v_add_f32_e32 v58, 1.0, v58
	v_div_scale_f32 v59, s[2:3], v58, v58, 1.0
	v_rcp_f32_e32 v70, v59
	v_fma_f32 v71, -v59, v70, 1.0
	v_fmac_f32_e32 v70, v71, v70
	v_div_scale_f32 v71, vcc, 1.0, v58, 1.0
	v_mul_f32_e32 v72, v71, v70
	v_fma_f32 v73, -v59, v72, v71
	v_fmac_f32_e32 v72, v73, v70
	v_fma_f32 v59, -v59, v72, v71
	v_div_fmas_f32 v59, v59, v70, v72
	v_div_fixup_f32 v58, v59, v58, 1.0
.LBB3_17:
	s_or_b64 exec, exec, s[0:1]
	s_waitcnt vmcnt(2)
	v_cmp_o_f32_e32 vcc, v52, v52
	s_and_saveexec_b64 s[0:1], vcc
	s_cbranch_execz .LBB3_19
; %bb.18:
	v_mul_f32_e32 v57, 0xbfb8aa3b, v52
	s_mov_b32 s2, 0xbfb8aa3b
	v_rndne_f32_e32 v59, v57
	v_sub_f32_e32 v70, v57, v59
	v_fma_f32 v57, v52, s2, -v57
	v_fmac_f32_e32 v57, 0xb2a5705f, v52
	v_add_f32_e32 v57, v70, v57
	v_exp_f32_e32 v57, v57
	v_cvt_i32_f32_e32 v59, v59
	s_mov_b32 s2, 0x42ce8ed0
	v_cmp_nlt_f32_e32 vcc, s2, v52
	s_mov_b32 s2, 0xc2b17218
	v_ldexp_f32 v57, v57, v59
	v_cndmask_b32_e32 v57, 0, v57, vcc
	v_mov_b32_e32 v59, 0x7f800000
	v_cmp_ngt_f32_e32 vcc, s2, v52
	v_cndmask_b32_e32 v52, v59, v57, vcc
	v_add_f32_e32 v52, 1.0, v52
	v_div_scale_f32 v57, s[2:3], v52, v52, 1.0
	v_rcp_f32_e32 v59, v57
	v_fma_f32 v70, -v57, v59, 1.0
	v_fmac_f32_e32 v59, v70, v59
	v_div_scale_f32 v70, vcc, 1.0, v52, 1.0
	v_mul_f32_e32 v71, v70, v59
	v_fma_f32 v72, -v57, v71, v70
	v_fmac_f32_e32 v71, v72, v59
	v_fma_f32 v57, -v57, v71, v70
	v_div_fmas_f32 v57, v57, v59, v71
	v_div_fixup_f32 v57, v57, v52, 1.0
.LBB3_19:
	s_or_b64 exec, exec, s[0:1]
	v_cmp_o_f32_e32 vcc, v53, v53
	v_mov_b32_e32 v52, 0
	v_mov_b32_e32 v59, 0
	s_and_saveexec_b64 s[0:1], vcc
	s_cbranch_execz .LBB3_21
; %bb.20:
	v_mul_f32_e32 v59, 0xbfb8aa3b, v53
	s_mov_b32 s2, 0xbfb8aa3b
	v_rndne_f32_e32 v70, v59
	v_sub_f32_e32 v71, v59, v70
	v_fma_f32 v59, v53, s2, -v59
	v_fmac_f32_e32 v59, 0xb2a5705f, v53
	v_add_f32_e32 v59, v71, v59
	v_exp_f32_e32 v59, v59
	v_cvt_i32_f32_e32 v70, v70
	s_mov_b32 s2, 0x42ce8ed0
	v_cmp_nlt_f32_e32 vcc, s2, v53
	s_mov_b32 s2, 0xc2b17218
	v_ldexp_f32 v59, v59, v70
	v_cndmask_b32_e32 v59, 0, v59, vcc
	v_mov_b32_e32 v70, 0x7f800000
	v_cmp_ngt_f32_e32 vcc, s2, v53
	v_cndmask_b32_e32 v53, v70, v59, vcc
	v_add_f32_e32 v53, 1.0, v53
	v_div_scale_f32 v59, s[2:3], v53, v53, 1.0
	v_rcp_f32_e32 v70, v59
	v_fma_f32 v71, -v59, v70, 1.0
	v_fmac_f32_e32 v70, v71, v70
	v_div_scale_f32 v71, vcc, 1.0, v53, 1.0
	v_mul_f32_e32 v72, v71, v70
	v_fma_f32 v73, -v59, v72, v71
	v_fmac_f32_e32 v72, v73, v70
	v_fma_f32 v59, -v59, v72, v71
	v_div_fmas_f32 v59, v59, v70, v72
	v_div_fixup_f32 v59, v59, v53, 1.0
.LBB3_21:
	s_or_b64 exec, exec, s[0:1]
	v_cmp_o_f32_e32 vcc, v54, v54
	s_and_saveexec_b64 s[0:1], vcc
	s_cbranch_execz .LBB3_23
; %bb.22:
	v_mul_f32_e32 v52, 0xbfb8aa3b, v54
	s_mov_b32 s2, 0xbfb8aa3b
	v_rndne_f32_e32 v53, v52
	v_sub_f32_e32 v70, v52, v53
	v_fma_f32 v52, v54, s2, -v52
	v_fmac_f32_e32 v52, 0xb2a5705f, v54
	v_add_f32_e32 v52, v70, v52
	v_exp_f32_e32 v52, v52
	v_cvt_i32_f32_e32 v53, v53
	s_mov_b32 s2, 0x42ce8ed0
	v_cmp_nlt_f32_e32 vcc, s2, v54
	s_mov_b32 s2, 0xc2b17218
	v_ldexp_f32 v52, v52, v53
	v_cndmask_b32_e32 v52, 0, v52, vcc
	v_mov_b32_e32 v53, 0x7f800000
	v_cmp_ngt_f32_e32 vcc, s2, v54
	v_cndmask_b32_e32 v52, v53, v52, vcc
	v_add_f32_e32 v52, 1.0, v52
	v_div_scale_f32 v53, s[2:3], v52, v52, 1.0
	v_rcp_f32_e32 v54, v53
	v_fma_f32 v70, -v53, v54, 1.0
	v_fmac_f32_e32 v54, v70, v54
	v_div_scale_f32 v70, vcc, 1.0, v52, 1.0
	v_mul_f32_e32 v71, v70, v54
	v_fma_f32 v72, -v53, v71, v70
	v_fmac_f32_e32 v71, v72, v54
	v_fma_f32 v53, -v53, v71, v70
	v_div_fmas_f32 v53, v53, v54, v71
	v_div_fixup_f32 v52, v53, v52, 1.0
.LBB3_23:
	s_or_b64 exec, exec, s[0:1]
	v_cmp_o_f32_e32 vcc, v55, v55
	v_mov_b32_e32 v53, 0
	v_mov_b32_e32 v54, 0
	s_and_saveexec_b64 s[0:1], vcc
	s_cbranch_execz .LBB3_25
; %bb.24:
	v_mul_f32_e32 v54, 0xbfb8aa3b, v55
	s_mov_b32 s2, 0xbfb8aa3b
	v_rndne_f32_e32 v70, v54
	v_sub_f32_e32 v71, v54, v70
	v_fma_f32 v54, v55, s2, -v54
	v_fmac_f32_e32 v54, 0xb2a5705f, v55
	v_add_f32_e32 v54, v71, v54
	v_exp_f32_e32 v54, v54
	v_cvt_i32_f32_e32 v70, v70
	s_mov_b32 s2, 0x42ce8ed0
	v_cmp_nlt_f32_e32 vcc, s2, v55
	s_mov_b32 s2, 0xc2b17218
	v_ldexp_f32 v54, v54, v70
	v_cndmask_b32_e32 v54, 0, v54, vcc
	v_mov_b32_e32 v70, 0x7f800000
	v_cmp_ngt_f32_e32 vcc, s2, v55
	v_cndmask_b32_e32 v54, v70, v54, vcc
	v_add_f32_e32 v54, 1.0, v54
	v_div_scale_f32 v55, s[2:3], v54, v54, 1.0
	v_rcp_f32_e32 v70, v55
	v_fma_f32 v71, -v55, v70, 1.0
	v_fmac_f32_e32 v70, v71, v70
	v_div_scale_f32 v71, vcc, 1.0, v54, 1.0
	v_mul_f32_e32 v72, v71, v70
	v_fma_f32 v73, -v55, v72, v71
	v_fmac_f32_e32 v72, v73, v70
	v_fma_f32 v55, -v55, v72, v71
	v_div_fmas_f32 v55, v55, v70, v72
	v_div_fixup_f32 v54, v55, v54, 1.0
.LBB3_25:
	s_or_b64 exec, exec, s[0:1]
	v_cmp_o_f32_e32 vcc, v48, v48
	s_and_saveexec_b64 s[0:1], vcc
	s_cbranch_execz .LBB3_27
; %bb.26:
	v_mul_f32_e32 v53, 0xbfb8aa3b, v48
	s_mov_b32 s2, 0xbfb8aa3b
	v_rndne_f32_e32 v55, v53
	v_sub_f32_e32 v70, v53, v55
	v_fma_f32 v53, v48, s2, -v53
	v_fmac_f32_e32 v53, 0xb2a5705f, v48
	v_add_f32_e32 v53, v70, v53
	v_exp_f32_e32 v53, v53
	v_cvt_i32_f32_e32 v55, v55
	s_mov_b32 s2, 0x42ce8ed0
	v_cmp_nlt_f32_e32 vcc, s2, v48
	s_mov_b32 s2, 0xc2b17218
	v_ldexp_f32 v53, v53, v55
	v_cndmask_b32_e32 v53, 0, v53, vcc
	v_mov_b32_e32 v55, 0x7f800000
	v_cmp_ngt_f32_e32 vcc, s2, v48
	v_cndmask_b32_e32 v48, v55, v53, vcc
	v_add_f32_e32 v48, 1.0, v48
	v_div_scale_f32 v53, s[2:3], v48, v48, 1.0
	v_rcp_f32_e32 v55, v53
	v_fma_f32 v70, -v53, v55, 1.0
	v_fmac_f32_e32 v55, v70, v55
	v_div_scale_f32 v70, vcc, 1.0, v48, 1.0
	v_mul_f32_e32 v71, v70, v55
	v_fma_f32 v72, -v53, v71, v70
	v_fmac_f32_e32 v71, v72, v55
	v_fma_f32 v53, -v53, v71, v70
	v_div_fmas_f32 v53, v53, v55, v71
	v_div_fixup_f32 v53, v53, v48, 1.0
.LBB3_27:
	s_or_b64 exec, exec, s[0:1]
	v_cmp_o_f32_e32 vcc, v49, v49
	v_mov_b32_e32 v48, 0
	v_mov_b32_e32 v55, 0
	s_and_saveexec_b64 s[0:1], vcc
	s_cbranch_execz .LBB3_29
; %bb.28:
	v_mul_f32_e32 v55, 0xbfb8aa3b, v49
	s_mov_b32 s2, 0xbfb8aa3b
	v_rndne_f32_e32 v70, v55
	v_sub_f32_e32 v71, v55, v70
	v_fma_f32 v55, v49, s2, -v55
	v_fmac_f32_e32 v55, 0xb2a5705f, v49
	v_add_f32_e32 v55, v71, v55
	v_exp_f32_e32 v55, v55
	v_cvt_i32_f32_e32 v70, v70
	s_mov_b32 s2, 0x42ce8ed0
	v_cmp_nlt_f32_e32 vcc, s2, v49
	s_mov_b32 s2, 0xc2b17218
	v_ldexp_f32 v55, v55, v70
	v_cndmask_b32_e32 v55, 0, v55, vcc
	v_mov_b32_e32 v70, 0x7f800000
	v_cmp_ngt_f32_e32 vcc, s2, v49
	v_cndmask_b32_e32 v49, v70, v55, vcc
	v_add_f32_e32 v49, 1.0, v49
	v_div_scale_f32 v55, s[2:3], v49, v49, 1.0
	v_rcp_f32_e32 v70, v55
	v_fma_f32 v71, -v55, v70, 1.0
	v_fmac_f32_e32 v70, v71, v70
	v_div_scale_f32 v71, vcc, 1.0, v49, 1.0
	v_mul_f32_e32 v72, v71, v70
	v_fma_f32 v73, -v55, v72, v71
	v_fmac_f32_e32 v72, v73, v70
	v_fma_f32 v55, -v55, v72, v71
	v_div_fmas_f32 v55, v55, v70, v72
	v_div_fixup_f32 v55, v55, v49, 1.0
.LBB3_29:
	s_or_b64 exec, exec, s[0:1]
	v_cmp_o_f32_e32 vcc, v50, v50
	s_and_saveexec_b64 s[0:1], vcc
	s_cbranch_execz .LBB3_31
; %bb.30:
	v_mul_f32_e32 v48, 0xbfb8aa3b, v50
	s_mov_b32 s2, 0xbfb8aa3b
	v_rndne_f32_e32 v49, v48
	v_sub_f32_e32 v70, v48, v49
	v_fma_f32 v48, v50, s2, -v48
	v_fmac_f32_e32 v48, 0xb2a5705f, v50
	v_add_f32_e32 v48, v70, v48
	v_exp_f32_e32 v48, v48
	v_cvt_i32_f32_e32 v49, v49
	s_mov_b32 s2, 0x42ce8ed0
	v_cmp_nlt_f32_e32 vcc, s2, v50
	s_mov_b32 s2, 0xc2b17218
	v_ldexp_f32 v48, v48, v49
	v_cndmask_b32_e32 v48, 0, v48, vcc
	v_mov_b32_e32 v49, 0x7f800000
	v_cmp_ngt_f32_e32 vcc, s2, v50
	v_cndmask_b32_e32 v48, v49, v48, vcc
	v_add_f32_e32 v48, 1.0, v48
	v_div_scale_f32 v49, s[2:3], v48, v48, 1.0
	v_rcp_f32_e32 v50, v49
	v_fma_f32 v70, -v49, v50, 1.0
	v_fmac_f32_e32 v50, v70, v50
	v_div_scale_f32 v70, vcc, 1.0, v48, 1.0
	v_mul_f32_e32 v71, v70, v50
	v_fma_f32 v72, -v49, v71, v70
	v_fmac_f32_e32 v71, v72, v50
	v_fma_f32 v49, -v49, v71, v70
	v_div_fmas_f32 v49, v49, v50, v71
	v_div_fixup_f32 v48, v49, v48, 1.0
.LBB3_31:
	s_or_b64 exec, exec, s[0:1]
	v_cmp_o_f32_e32 vcc, v51, v51
	v_mov_b32_e32 v49, 0
	v_mov_b32_e32 v50, 0
	s_and_saveexec_b64 s[0:1], vcc
	s_cbranch_execz .LBB3_33
; %bb.32:
	v_mul_f32_e32 v50, 0xbfb8aa3b, v51
	s_mov_b32 s2, 0xbfb8aa3b
	v_rndne_f32_e32 v70, v50
	v_sub_f32_e32 v71, v50, v70
	v_fma_f32 v50, v51, s2, -v50
	v_fmac_f32_e32 v50, 0xb2a5705f, v51
	v_add_f32_e32 v50, v71, v50
	v_exp_f32_e32 v50, v50
	v_cvt_i32_f32_e32 v70, v70
	s_mov_b32 s2, 0x42ce8ed0
	v_cmp_nlt_f32_e32 vcc, s2, v51
	s_mov_b32 s2, 0xc2b17218
	v_ldexp_f32 v50, v50, v70
	v_cndmask_b32_e32 v50, 0, v50, vcc
	v_mov_b32_e32 v70, 0x7f800000
	v_cmp_ngt_f32_e32 vcc, s2, v51
	v_cndmask_b32_e32 v50, v70, v50, vcc
	v_add_f32_e32 v50, 1.0, v50
	v_div_scale_f32 v51, s[2:3], v50, v50, 1.0
	v_rcp_f32_e32 v70, v51
	v_fma_f32 v71, -v51, v70, 1.0
	v_fmac_f32_e32 v70, v71, v70
	v_div_scale_f32 v71, vcc, 1.0, v50, 1.0
	v_mul_f32_e32 v72, v71, v70
	v_fma_f32 v73, -v51, v72, v71
	v_fmac_f32_e32 v72, v73, v70
	v_fma_f32 v51, -v51, v72, v71
	v_div_fmas_f32 v51, v51, v70, v72
	v_div_fixup_f32 v50, v51, v50, 1.0
.LBB3_33:
	s_or_b64 exec, exec, s[0:1]
	v_cmp_o_f32_e32 vcc, v44, v44
	s_and_saveexec_b64 s[0:1], vcc
	s_cbranch_execz .LBB3_35
; %bb.34:
	v_mul_f32_e32 v49, 0xbfb8aa3b, v44
	s_mov_b32 s2, 0xbfb8aa3b
	v_rndne_f32_e32 v51, v49
	v_sub_f32_e32 v70, v49, v51
	v_fma_f32 v49, v44, s2, -v49
	v_fmac_f32_e32 v49, 0xb2a5705f, v44
	v_add_f32_e32 v49, v70, v49
	v_exp_f32_e32 v49, v49
	v_cvt_i32_f32_e32 v51, v51
	s_mov_b32 s2, 0x42ce8ed0
	v_cmp_nlt_f32_e32 vcc, s2, v44
	s_mov_b32 s2, 0xc2b17218
	v_ldexp_f32 v49, v49, v51
	v_cndmask_b32_e32 v49, 0, v49, vcc
	v_mov_b32_e32 v51, 0x7f800000
	v_cmp_ngt_f32_e32 vcc, s2, v44
	v_cndmask_b32_e32 v44, v51, v49, vcc
	v_add_f32_e32 v44, 1.0, v44
	v_div_scale_f32 v49, s[2:3], v44, v44, 1.0
	v_rcp_f32_e32 v51, v49
	v_fma_f32 v70, -v49, v51, 1.0
	v_fmac_f32_e32 v51, v70, v51
	v_div_scale_f32 v70, vcc, 1.0, v44, 1.0
	v_mul_f32_e32 v71, v70, v51
	v_fma_f32 v72, -v49, v71, v70
	v_fmac_f32_e32 v71, v72, v51
	v_fma_f32 v49, -v49, v71, v70
	v_div_fmas_f32 v49, v49, v51, v71
	v_div_fixup_f32 v49, v49, v44, 1.0
.LBB3_35:
	s_or_b64 exec, exec, s[0:1]
	v_cmp_o_f32_e32 vcc, v45, v45
	v_mov_b32_e32 v44, 0
	v_mov_b32_e32 v51, 0
	s_and_saveexec_b64 s[0:1], vcc
	s_cbranch_execz .LBB3_37
; %bb.36:
	v_mul_f32_e32 v51, 0xbfb8aa3b, v45
	s_mov_b32 s2, 0xbfb8aa3b
	v_rndne_f32_e32 v70, v51
	v_sub_f32_e32 v71, v51, v70
	v_fma_f32 v51, v45, s2, -v51
	v_fmac_f32_e32 v51, 0xb2a5705f, v45
	v_add_f32_e32 v51, v71, v51
	v_exp_f32_e32 v51, v51
	v_cvt_i32_f32_e32 v70, v70
	s_mov_b32 s2, 0x42ce8ed0
	v_cmp_nlt_f32_e32 vcc, s2, v45
	s_mov_b32 s2, 0xc2b17218
	v_ldexp_f32 v51, v51, v70
	v_cndmask_b32_e32 v51, 0, v51, vcc
	v_mov_b32_e32 v70, 0x7f800000
	v_cmp_ngt_f32_e32 vcc, s2, v45
	v_cndmask_b32_e32 v45, v70, v51, vcc
	v_add_f32_e32 v45, 1.0, v45
	v_div_scale_f32 v51, s[2:3], v45, v45, 1.0
	v_rcp_f32_e32 v70, v51
	v_fma_f32 v71, -v51, v70, 1.0
	v_fmac_f32_e32 v70, v71, v70
	v_div_scale_f32 v71, vcc, 1.0, v45, 1.0
	v_mul_f32_e32 v72, v71, v70
	v_fma_f32 v73, -v51, v72, v71
	v_fmac_f32_e32 v72, v73, v70
	v_fma_f32 v51, -v51, v72, v71
	v_div_fmas_f32 v51, v51, v70, v72
	v_div_fixup_f32 v51, v51, v45, 1.0
.LBB3_37:
	s_or_b64 exec, exec, s[0:1]
	v_cmp_o_f32_e32 vcc, v46, v46
	s_and_saveexec_b64 s[0:1], vcc
	s_cbranch_execz .LBB3_39
; %bb.38:
	v_mul_f32_e32 v44, 0xbfb8aa3b, v46
	s_mov_b32 s2, 0xbfb8aa3b
	v_rndne_f32_e32 v45, v44
	v_sub_f32_e32 v70, v44, v45
	v_fma_f32 v44, v46, s2, -v44
	v_fmac_f32_e32 v44, 0xb2a5705f, v46
	v_add_f32_e32 v44, v70, v44
	v_exp_f32_e32 v44, v44
	v_cvt_i32_f32_e32 v45, v45
	s_mov_b32 s2, 0x42ce8ed0
	v_cmp_nlt_f32_e32 vcc, s2, v46
	s_mov_b32 s2, 0xc2b17218
	v_ldexp_f32 v44, v44, v45
	v_cndmask_b32_e32 v44, 0, v44, vcc
	v_mov_b32_e32 v45, 0x7f800000
	v_cmp_ngt_f32_e32 vcc, s2, v46
	v_cndmask_b32_e32 v44, v45, v44, vcc
	v_add_f32_e32 v44, 1.0, v44
	v_div_scale_f32 v45, s[2:3], v44, v44, 1.0
	v_rcp_f32_e32 v46, v45
	v_fma_f32 v70, -v45, v46, 1.0
	v_fmac_f32_e32 v46, v70, v46
	v_div_scale_f32 v70, vcc, 1.0, v44, 1.0
	v_mul_f32_e32 v71, v70, v46
	v_fma_f32 v72, -v45, v71, v70
	v_fmac_f32_e32 v71, v72, v46
	v_fma_f32 v45, -v45, v71, v70
	v_div_fmas_f32 v45, v45, v46, v71
	v_div_fixup_f32 v44, v45, v44, 1.0
.LBB3_39:
	s_or_b64 exec, exec, s[0:1]
	v_cmp_o_f32_e32 vcc, v47, v47
	v_mov_b32_e32 v45, 0
	v_mov_b32_e32 v46, 0
	s_and_saveexec_b64 s[0:1], vcc
	s_cbranch_execz .LBB3_41
; %bb.40:
	v_mul_f32_e32 v46, 0xbfb8aa3b, v47
	s_mov_b32 s2, 0xbfb8aa3b
	v_rndne_f32_e32 v70, v46
	v_sub_f32_e32 v71, v46, v70
	v_fma_f32 v46, v47, s2, -v46
	v_fmac_f32_e32 v46, 0xb2a5705f, v47
	v_add_f32_e32 v46, v71, v46
	v_exp_f32_e32 v46, v46
	v_cvt_i32_f32_e32 v70, v70
	s_mov_b32 s2, 0x42ce8ed0
	v_cmp_nlt_f32_e32 vcc, s2, v47
	s_mov_b32 s2, 0xc2b17218
	v_ldexp_f32 v46, v46, v70
	v_cndmask_b32_e32 v46, 0, v46, vcc
	v_mov_b32_e32 v70, 0x7f800000
	v_cmp_ngt_f32_e32 vcc, s2, v47
	v_cndmask_b32_e32 v46, v70, v46, vcc
	v_add_f32_e32 v46, 1.0, v46
	v_div_scale_f32 v47, s[2:3], v46, v46, 1.0
	v_rcp_f32_e32 v70, v47
	v_fma_f32 v71, -v47, v70, 1.0
	v_fmac_f32_e32 v70, v71, v70
	v_div_scale_f32 v71, vcc, 1.0, v46, 1.0
	v_mul_f32_e32 v72, v71, v70
	v_fma_f32 v73, -v47, v72, v71
	v_fmac_f32_e32 v72, v73, v70
	v_fma_f32 v47, -v47, v72, v71
	v_div_fmas_f32 v47, v47, v70, v72
	v_div_fixup_f32 v46, v47, v46, 1.0
.LBB3_41:
	s_or_b64 exec, exec, s[0:1]
	v_cmp_o_f32_e32 vcc, v40, v40
	s_and_saveexec_b64 s[0:1], vcc
	s_cbranch_execz .LBB3_43
; %bb.42:
	v_mul_f32_e32 v45, 0xbfb8aa3b, v40
	s_mov_b32 s2, 0xbfb8aa3b
	v_rndne_f32_e32 v47, v45
	v_sub_f32_e32 v70, v45, v47
	v_fma_f32 v45, v40, s2, -v45
	v_fmac_f32_e32 v45, 0xb2a5705f, v40
	v_add_f32_e32 v45, v70, v45
	v_exp_f32_e32 v45, v45
	v_cvt_i32_f32_e32 v47, v47
	s_mov_b32 s2, 0x42ce8ed0
	v_cmp_nlt_f32_e32 vcc, s2, v40
	s_mov_b32 s2, 0xc2b17218
	v_ldexp_f32 v45, v45, v47
	v_cndmask_b32_e32 v45, 0, v45, vcc
	v_mov_b32_e32 v47, 0x7f800000
	v_cmp_ngt_f32_e32 vcc, s2, v40
	v_cndmask_b32_e32 v40, v47, v45, vcc
	v_add_f32_e32 v40, 1.0, v40
	v_div_scale_f32 v45, s[2:3], v40, v40, 1.0
	v_rcp_f32_e32 v47, v45
	v_fma_f32 v70, -v45, v47, 1.0
	v_fmac_f32_e32 v47, v70, v47
	v_div_scale_f32 v70, vcc, 1.0, v40, 1.0
	v_mul_f32_e32 v71, v70, v47
	v_fma_f32 v72, -v45, v71, v70
	v_fmac_f32_e32 v71, v72, v47
	v_fma_f32 v45, -v45, v71, v70
	v_div_fmas_f32 v45, v45, v47, v71
	v_div_fixup_f32 v45, v45, v40, 1.0
.LBB3_43:
	s_or_b64 exec, exec, s[0:1]
	v_cmp_o_f32_e32 vcc, v41, v41
	v_mov_b32_e32 v40, 0
	v_mov_b32_e32 v47, 0
	s_and_saveexec_b64 s[0:1], vcc
	s_cbranch_execz .LBB3_45
; %bb.44:
	v_mul_f32_e32 v47, 0xbfb8aa3b, v41
	s_mov_b32 s2, 0xbfb8aa3b
	v_rndne_f32_e32 v70, v47
	v_sub_f32_e32 v71, v47, v70
	v_fma_f32 v47, v41, s2, -v47
	v_fmac_f32_e32 v47, 0xb2a5705f, v41
	v_add_f32_e32 v47, v71, v47
	v_exp_f32_e32 v47, v47
	v_cvt_i32_f32_e32 v70, v70
	s_mov_b32 s2, 0x42ce8ed0
	v_cmp_nlt_f32_e32 vcc, s2, v41
	s_mov_b32 s2, 0xc2b17218
	v_ldexp_f32 v47, v47, v70
	v_cndmask_b32_e32 v47, 0, v47, vcc
	v_mov_b32_e32 v70, 0x7f800000
	v_cmp_ngt_f32_e32 vcc, s2, v41
	v_cndmask_b32_e32 v41, v70, v47, vcc
	v_add_f32_e32 v41, 1.0, v41
	v_div_scale_f32 v47, s[2:3], v41, v41, 1.0
	v_rcp_f32_e32 v70, v47
	v_fma_f32 v71, -v47, v70, 1.0
	v_fmac_f32_e32 v70, v71, v70
	v_div_scale_f32 v71, vcc, 1.0, v41, 1.0
	v_mul_f32_e32 v72, v71, v70
	v_fma_f32 v73, -v47, v72, v71
	v_fmac_f32_e32 v72, v73, v70
	v_fma_f32 v47, -v47, v72, v71
	v_div_fmas_f32 v47, v47, v70, v72
	v_div_fixup_f32 v47, v47, v41, 1.0
.LBB3_45:
	s_or_b64 exec, exec, s[0:1]
	v_cmp_o_f32_e32 vcc, v42, v42
	s_and_saveexec_b64 s[0:1], vcc
	s_cbranch_execz .LBB3_47
; %bb.46:
	v_mul_f32_e32 v40, 0xbfb8aa3b, v42
	s_mov_b32 s2, 0xbfb8aa3b
	v_rndne_f32_e32 v41, v40
	v_sub_f32_e32 v70, v40, v41
	v_fma_f32 v40, v42, s2, -v40
	v_fmac_f32_e32 v40, 0xb2a5705f, v42
	v_add_f32_e32 v40, v70, v40
	v_exp_f32_e32 v40, v40
	v_cvt_i32_f32_e32 v41, v41
	s_mov_b32 s2, 0x42ce8ed0
	v_cmp_nlt_f32_e32 vcc, s2, v42
	s_mov_b32 s2, 0xc2b17218
	v_ldexp_f32 v40, v40, v41
	v_cndmask_b32_e32 v40, 0, v40, vcc
	v_mov_b32_e32 v41, 0x7f800000
	v_cmp_ngt_f32_e32 vcc, s2, v42
	v_cndmask_b32_e32 v40, v41, v40, vcc
	v_add_f32_e32 v40, 1.0, v40
	v_div_scale_f32 v41, s[2:3], v40, v40, 1.0
	v_rcp_f32_e32 v42, v41
	v_fma_f32 v70, -v41, v42, 1.0
	v_fmac_f32_e32 v42, v70, v42
	v_div_scale_f32 v70, vcc, 1.0, v40, 1.0
	v_mul_f32_e32 v71, v70, v42
	v_fma_f32 v72, -v41, v71, v70
	v_fmac_f32_e32 v71, v72, v42
	v_fma_f32 v41, -v41, v71, v70
	v_div_fmas_f32 v41, v41, v42, v71
	v_div_fixup_f32 v40, v41, v40, 1.0
.LBB3_47:
	s_or_b64 exec, exec, s[0:1]
	v_cmp_o_f32_e32 vcc, v43, v43
	v_mov_b32_e32 v41, 0
	v_mov_b32_e32 v42, 0
	s_and_saveexec_b64 s[0:1], vcc
	s_cbranch_execz .LBB3_49
; %bb.48:
	v_mul_f32_e32 v42, 0xbfb8aa3b, v43
	s_mov_b32 s2, 0xbfb8aa3b
	v_rndne_f32_e32 v70, v42
	v_sub_f32_e32 v71, v42, v70
	v_fma_f32 v42, v43, s2, -v42
	v_fmac_f32_e32 v42, 0xb2a5705f, v43
	v_add_f32_e32 v42, v71, v42
	v_exp_f32_e32 v42, v42
	v_cvt_i32_f32_e32 v70, v70
	s_mov_b32 s2, 0x42ce8ed0
	v_cmp_nlt_f32_e32 vcc, s2, v43
	s_mov_b32 s2, 0xc2b17218
	v_ldexp_f32 v42, v42, v70
	v_cndmask_b32_e32 v42, 0, v42, vcc
	v_mov_b32_e32 v70, 0x7f800000
	v_cmp_ngt_f32_e32 vcc, s2, v43
	v_cndmask_b32_e32 v42, v70, v42, vcc
	v_add_f32_e32 v42, 1.0, v42
	v_div_scale_f32 v43, s[2:3], v42, v42, 1.0
	v_rcp_f32_e32 v70, v43
	v_fma_f32 v71, -v43, v70, 1.0
	v_fmac_f32_e32 v70, v71, v70
	v_div_scale_f32 v71, vcc, 1.0, v42, 1.0
	v_mul_f32_e32 v72, v71, v70
	v_fma_f32 v73, -v43, v72, v71
	v_fmac_f32_e32 v72, v73, v70
	v_fma_f32 v43, -v43, v72, v71
	v_div_fmas_f32 v43, v43, v70, v72
	v_div_fixup_f32 v42, v43, v42, 1.0
.LBB3_49:
	s_or_b64 exec, exec, s[0:1]
	v_cmp_o_f32_e32 vcc, v36, v36
	s_and_saveexec_b64 s[0:1], vcc
	s_cbranch_execz .LBB3_51
; %bb.50:
	v_mul_f32_e32 v41, 0xbfb8aa3b, v36
	s_mov_b32 s2, 0xbfb8aa3b
	v_rndne_f32_e32 v43, v41
	v_sub_f32_e32 v70, v41, v43
	v_fma_f32 v41, v36, s2, -v41
	v_fmac_f32_e32 v41, 0xb2a5705f, v36
	v_add_f32_e32 v41, v70, v41
	v_exp_f32_e32 v41, v41
	v_cvt_i32_f32_e32 v43, v43
	s_mov_b32 s2, 0x42ce8ed0
	v_cmp_nlt_f32_e32 vcc, s2, v36
	s_mov_b32 s2, 0xc2b17218
	v_ldexp_f32 v41, v41, v43
	v_cndmask_b32_e32 v41, 0, v41, vcc
	v_mov_b32_e32 v43, 0x7f800000
	v_cmp_ngt_f32_e32 vcc, s2, v36
	v_cndmask_b32_e32 v36, v43, v41, vcc
	v_add_f32_e32 v36, 1.0, v36
	v_div_scale_f32 v41, s[2:3], v36, v36, 1.0
	v_rcp_f32_e32 v43, v41
	v_fma_f32 v70, -v41, v43, 1.0
	v_fmac_f32_e32 v43, v70, v43
	v_div_scale_f32 v70, vcc, 1.0, v36, 1.0
	v_mul_f32_e32 v71, v70, v43
	v_fma_f32 v72, -v41, v71, v70
	v_fmac_f32_e32 v71, v72, v43
	v_fma_f32 v41, -v41, v71, v70
	v_div_fmas_f32 v41, v41, v43, v71
	v_div_fixup_f32 v41, v41, v36, 1.0
.LBB3_51:
	s_or_b64 exec, exec, s[0:1]
	v_cmp_o_f32_e32 vcc, v37, v37
	v_mov_b32_e32 v36, 0
	v_mov_b32_e32 v43, 0
	s_and_saveexec_b64 s[0:1], vcc
	s_cbranch_execz .LBB3_53
; %bb.52:
	v_mul_f32_e32 v43, 0xbfb8aa3b, v37
	s_mov_b32 s2, 0xbfb8aa3b
	v_rndne_f32_e32 v70, v43
	v_sub_f32_e32 v71, v43, v70
	v_fma_f32 v43, v37, s2, -v43
	v_fmac_f32_e32 v43, 0xb2a5705f, v37
	v_add_f32_e32 v43, v71, v43
	v_exp_f32_e32 v43, v43
	v_cvt_i32_f32_e32 v70, v70
	s_mov_b32 s2, 0x42ce8ed0
	v_cmp_nlt_f32_e32 vcc, s2, v37
	s_mov_b32 s2, 0xc2b17218
	v_ldexp_f32 v43, v43, v70
	v_cndmask_b32_e32 v43, 0, v43, vcc
	v_mov_b32_e32 v70, 0x7f800000
	v_cmp_ngt_f32_e32 vcc, s2, v37
	v_cndmask_b32_e32 v37, v70, v43, vcc
	v_add_f32_e32 v37, 1.0, v37
	v_div_scale_f32 v43, s[2:3], v37, v37, 1.0
	v_rcp_f32_e32 v70, v43
	v_fma_f32 v71, -v43, v70, 1.0
	v_fmac_f32_e32 v70, v71, v70
	v_div_scale_f32 v71, vcc, 1.0, v37, 1.0
	v_mul_f32_e32 v72, v71, v70
	v_fma_f32 v73, -v43, v72, v71
	v_fmac_f32_e32 v72, v73, v70
	v_fma_f32 v43, -v43, v72, v71
	v_div_fmas_f32 v43, v43, v70, v72
	v_div_fixup_f32 v43, v43, v37, 1.0
.LBB3_53:
	s_or_b64 exec, exec, s[0:1]
	v_cmp_o_f32_e32 vcc, v38, v38
	s_and_saveexec_b64 s[0:1], vcc
	s_cbranch_execz .LBB3_55
; %bb.54:
	v_mul_f32_e32 v36, 0xbfb8aa3b, v38
	s_mov_b32 s2, 0xbfb8aa3b
	v_rndne_f32_e32 v37, v36
	v_sub_f32_e32 v70, v36, v37
	v_fma_f32 v36, v38, s2, -v36
	v_fmac_f32_e32 v36, 0xb2a5705f, v38
	v_add_f32_e32 v36, v70, v36
	v_exp_f32_e32 v36, v36
	v_cvt_i32_f32_e32 v37, v37
	s_mov_b32 s2, 0x42ce8ed0
	v_cmp_nlt_f32_e32 vcc, s2, v38
	s_mov_b32 s2, 0xc2b17218
	v_ldexp_f32 v36, v36, v37
	v_cndmask_b32_e32 v36, 0, v36, vcc
	v_mov_b32_e32 v37, 0x7f800000
	v_cmp_ngt_f32_e32 vcc, s2, v38
	v_cndmask_b32_e32 v36, v37, v36, vcc
	v_add_f32_e32 v36, 1.0, v36
	v_div_scale_f32 v37, s[2:3], v36, v36, 1.0
	v_rcp_f32_e32 v38, v37
	v_fma_f32 v70, -v37, v38, 1.0
	v_fmac_f32_e32 v38, v70, v38
	v_div_scale_f32 v70, vcc, 1.0, v36, 1.0
	v_mul_f32_e32 v71, v70, v38
	v_fma_f32 v72, -v37, v71, v70
	v_fmac_f32_e32 v71, v72, v38
	v_fma_f32 v37, -v37, v71, v70
	v_div_fmas_f32 v37, v37, v38, v71
	v_div_fixup_f32 v36, v37, v36, 1.0
.LBB3_55:
	s_or_b64 exec, exec, s[0:1]
	v_cmp_o_f32_e32 vcc, v39, v39
	v_mov_b32_e32 v37, 0
	v_mov_b32_e32 v38, 0
	s_and_saveexec_b64 s[0:1], vcc
	s_cbranch_execz .LBB3_57
; %bb.56:
	v_mul_f32_e32 v38, 0xbfb8aa3b, v39
	s_mov_b32 s2, 0xbfb8aa3b
	v_rndne_f32_e32 v70, v38
	v_sub_f32_e32 v71, v38, v70
	v_fma_f32 v38, v39, s2, -v38
	v_fmac_f32_e32 v38, 0xb2a5705f, v39
	v_add_f32_e32 v38, v71, v38
	v_exp_f32_e32 v38, v38
	v_cvt_i32_f32_e32 v70, v70
	s_mov_b32 s2, 0x42ce8ed0
	v_cmp_nlt_f32_e32 vcc, s2, v39
	s_mov_b32 s2, 0xc2b17218
	v_ldexp_f32 v38, v38, v70
	v_cndmask_b32_e32 v38, 0, v38, vcc
	v_mov_b32_e32 v70, 0x7f800000
	v_cmp_ngt_f32_e32 vcc, s2, v39
	v_cndmask_b32_e32 v38, v70, v38, vcc
	v_add_f32_e32 v38, 1.0, v38
	v_div_scale_f32 v39, s[2:3], v38, v38, 1.0
	v_rcp_f32_e32 v70, v39
	v_fma_f32 v71, -v39, v70, 1.0
	v_fmac_f32_e32 v70, v71, v70
	v_div_scale_f32 v71, vcc, 1.0, v38, 1.0
	v_mul_f32_e32 v72, v71, v70
	v_fma_f32 v73, -v39, v72, v71
	v_fmac_f32_e32 v72, v73, v70
	v_fma_f32 v39, -v39, v72, v71
	v_div_fmas_f32 v39, v39, v70, v72
	v_div_fixup_f32 v38, v39, v38, 1.0
.LBB3_57:
	s_or_b64 exec, exec, s[0:1]
	v_cmp_o_f32_e32 vcc, v32, v32
	s_and_saveexec_b64 s[0:1], vcc
	s_cbranch_execz .LBB3_59
; %bb.58:
	v_mul_f32_e32 v37, 0xbfb8aa3b, v32
	s_mov_b32 s2, 0xbfb8aa3b
	v_rndne_f32_e32 v39, v37
	v_sub_f32_e32 v70, v37, v39
	v_fma_f32 v37, v32, s2, -v37
	v_fmac_f32_e32 v37, 0xb2a5705f, v32
	v_add_f32_e32 v37, v70, v37
	v_exp_f32_e32 v37, v37
	v_cvt_i32_f32_e32 v39, v39
	s_mov_b32 s2, 0x42ce8ed0
	v_cmp_nlt_f32_e32 vcc, s2, v32
	s_mov_b32 s2, 0xc2b17218
	v_ldexp_f32 v37, v37, v39
	v_cndmask_b32_e32 v37, 0, v37, vcc
	v_mov_b32_e32 v39, 0x7f800000
	v_cmp_ngt_f32_e32 vcc, s2, v32
	v_cndmask_b32_e32 v32, v39, v37, vcc
	v_add_f32_e32 v32, 1.0, v32
	v_div_scale_f32 v37, s[2:3], v32, v32, 1.0
	v_rcp_f32_e32 v39, v37
	v_fma_f32 v70, -v37, v39, 1.0
	v_fmac_f32_e32 v39, v70, v39
	v_div_scale_f32 v70, vcc, 1.0, v32, 1.0
	v_mul_f32_e32 v71, v70, v39
	v_fma_f32 v72, -v37, v71, v70
	v_fmac_f32_e32 v71, v72, v39
	v_fma_f32 v37, -v37, v71, v70
	v_div_fmas_f32 v37, v37, v39, v71
	v_div_fixup_f32 v37, v37, v32, 1.0
.LBB3_59:
	s_or_b64 exec, exec, s[0:1]
	v_cmp_o_f32_e32 vcc, v33, v33
	v_mov_b32_e32 v32, 0
	v_mov_b32_e32 v39, 0
	s_and_saveexec_b64 s[0:1], vcc
	s_cbranch_execz .LBB3_61
; %bb.60:
	v_mul_f32_e32 v39, 0xbfb8aa3b, v33
	s_mov_b32 s2, 0xbfb8aa3b
	v_rndne_f32_e32 v70, v39
	v_sub_f32_e32 v71, v39, v70
	v_fma_f32 v39, v33, s2, -v39
	v_fmac_f32_e32 v39, 0xb2a5705f, v33
	v_add_f32_e32 v39, v71, v39
	v_exp_f32_e32 v39, v39
	v_cvt_i32_f32_e32 v70, v70
	s_mov_b32 s2, 0x42ce8ed0
	v_cmp_nlt_f32_e32 vcc, s2, v33
	s_mov_b32 s2, 0xc2b17218
	v_ldexp_f32 v39, v39, v70
	v_cndmask_b32_e32 v39, 0, v39, vcc
	v_mov_b32_e32 v70, 0x7f800000
	v_cmp_ngt_f32_e32 vcc, s2, v33
	v_cndmask_b32_e32 v33, v70, v39, vcc
	v_add_f32_e32 v33, 1.0, v33
	v_div_scale_f32 v39, s[2:3], v33, v33, 1.0
	v_rcp_f32_e32 v70, v39
	v_fma_f32 v71, -v39, v70, 1.0
	v_fmac_f32_e32 v70, v71, v70
	v_div_scale_f32 v71, vcc, 1.0, v33, 1.0
	v_mul_f32_e32 v72, v71, v70
	v_fma_f32 v73, -v39, v72, v71
	v_fmac_f32_e32 v72, v73, v70
	v_fma_f32 v39, -v39, v72, v71
	v_div_fmas_f32 v39, v39, v70, v72
	v_div_fixup_f32 v39, v39, v33, 1.0
.LBB3_61:
	s_or_b64 exec, exec, s[0:1]
	v_cmp_o_f32_e32 vcc, v34, v34
	s_and_saveexec_b64 s[0:1], vcc
	s_cbranch_execz .LBB3_63
; %bb.62:
	v_mul_f32_e32 v32, 0xbfb8aa3b, v34
	s_mov_b32 s2, 0xbfb8aa3b
	v_rndne_f32_e32 v33, v32
	v_sub_f32_e32 v70, v32, v33
	v_fma_f32 v32, v34, s2, -v32
	v_fmac_f32_e32 v32, 0xb2a5705f, v34
	v_add_f32_e32 v32, v70, v32
	v_exp_f32_e32 v32, v32
	v_cvt_i32_f32_e32 v33, v33
	s_mov_b32 s2, 0x42ce8ed0
	v_cmp_nlt_f32_e32 vcc, s2, v34
	s_mov_b32 s2, 0xc2b17218
	v_ldexp_f32 v32, v32, v33
	v_cndmask_b32_e32 v32, 0, v32, vcc
	v_mov_b32_e32 v33, 0x7f800000
	v_cmp_ngt_f32_e32 vcc, s2, v34
	v_cndmask_b32_e32 v32, v33, v32, vcc
	v_add_f32_e32 v32, 1.0, v32
	v_div_scale_f32 v33, s[2:3], v32, v32, 1.0
	v_rcp_f32_e32 v34, v33
	v_fma_f32 v70, -v33, v34, 1.0
	v_fmac_f32_e32 v34, v70, v34
	v_div_scale_f32 v70, vcc, 1.0, v32, 1.0
	v_mul_f32_e32 v71, v70, v34
	v_fma_f32 v72, -v33, v71, v70
	v_fmac_f32_e32 v71, v72, v34
	v_fma_f32 v33, -v33, v71, v70
	v_div_fmas_f32 v33, v33, v34, v71
	v_div_fixup_f32 v32, v33, v32, 1.0
.LBB3_63:
	s_or_b64 exec, exec, s[0:1]
	v_cmp_o_f32_e32 vcc, v35, v35
	v_mov_b32_e32 v33, 0
	s_and_saveexec_b64 s[0:1], vcc
	s_cbranch_execz .LBB3_65
; %bb.64:
	v_mul_f32_e32 v33, 0xbfb8aa3b, v35
	s_mov_b32 s2, 0xbfb8aa3b
	v_rndne_f32_e32 v34, v33
	v_sub_f32_e32 v70, v33, v34
	v_fma_f32 v33, v35, s2, -v33
	v_fmac_f32_e32 v33, 0xb2a5705f, v35
	v_add_f32_e32 v33, v70, v33
	v_exp_f32_e32 v33, v33
	v_cvt_i32_f32_e32 v34, v34
	s_mov_b32 s2, 0x42ce8ed0
	v_cmp_nlt_f32_e32 vcc, s2, v35
	s_mov_b32 s2, 0xc2b17218
	v_ldexp_f32 v33, v33, v34
	v_cndmask_b32_e32 v33, 0, v33, vcc
	v_mov_b32_e32 v34, 0x7f800000
	v_cmp_ngt_f32_e32 vcc, s2, v35
	v_cndmask_b32_e32 v33, v34, v33, vcc
	v_add_f32_e32 v33, 1.0, v33
	v_div_scale_f32 v34, s[2:3], v33, v33, 1.0
	v_rcp_f32_e32 v35, v34
	v_fma_f32 v70, -v34, v35, 1.0
	v_fmac_f32_e32 v35, v70, v35
	v_div_scale_f32 v70, vcc, 1.0, v33, 1.0
	v_mul_f32_e32 v71, v70, v35
	v_fma_f32 v72, -v34, v71, v70
	v_fmac_f32_e32 v71, v72, v35
	v_fma_f32 v34, -v34, v71, v70
	v_div_fmas_f32 v34, v34, v35, v71
	v_div_fixup_f32 v33, v34, v33, 1.0
.LBB3_65:
	s_or_b64 exec, exec, s[0:1]
	s_waitcnt vmcnt(0)
	v_add_f32_e32 v28, v28, v67
	v_add_f32_e32 v29, v29, v68
	v_max_f32_e32 v70, 0xff7fffff, v28
	s_mov_b32 s2, 0xff7fffff
	v_cmp_ngt_f32_e32 vcc, v29, v70
	v_mov_b32_e32 v34, v70
	v_mov_b32_e32 v35, v29
	s_and_saveexec_b64 s[0:1], vcc
	s_cbranch_execz .LBB3_69
; %bb.66:
	v_cmp_lt_f32_e32 vcc, s2, v29
	v_mov_b32_e32 v34, 0xff7fffff
	s_and_saveexec_b64 s[2:3], vcc
; %bb.67:
	v_mov_b32_e32 v34, v29
; %bb.68:
	s_or_b64 exec, exec, s[2:3]
	v_mov_b32_e32 v35, v70
.LBB3_69:
	s_or_b64 exec, exec, s[0:1]
	v_add_f32_e32 v30, v30, v60
	v_cmp_ngt_f32_e32 vcc, v30, v35
	v_mov_b32_e32 v71, v35
	v_mov_b32_e32 v70, v30
	s_and_saveexec_b64 s[0:1], vcc
	s_cbranch_execz .LBB3_73
; %bb.70:
	v_cmp_gt_f32_e32 vcc, v30, v34
	s_and_saveexec_b64 s[2:3], vcc
; %bb.71:
	v_mov_b32_e32 v34, v30
; %bb.72:
	s_or_b64 exec, exec, s[2:3]
	v_mov_b32_e32 v71, v34
	v_mov_b32_e32 v70, v35
.LBB3_73:
	s_or_b64 exec, exec, s[0:1]
	v_add_f32_e32 v31, v31, v62
	v_cmp_ngt_f32_e32 vcc, v31, v70
	v_mov_b32_e32 v72, v70
	v_mov_b32_e32 v34, v31
	s_and_saveexec_b64 s[0:1], vcc
	s_cbranch_execz .LBB3_77
; %bb.74:
	v_cmp_gt_f32_e32 vcc, v31, v71
	s_and_saveexec_b64 s[2:3], vcc
; %bb.75:
	v_mov_b32_e32 v71, v31
; %bb.76:
	s_or_b64 exec, exec, s[2:3]
	v_mov_b32_e32 v72, v71
	v_mov_b32_e32 v34, v70
.LBB3_77:
	;; [unrolled: 17-line block ×30, first 2 shown]
	s_or_b64 exec, exec, s[0:1]
	v_cmp_lt_i64_e64 s[0:1], s[74:75], 8
	v_lshlrev_b32_e32 v75, 5, v66
	s_and_b64 vcc, exec, s[0:1]
	s_cbranch_vccz .LBB3_192
; %bb.190:
	s_sub_u32 s6, 8, s74
	s_subb_u32 s7, 0, s75
	v_add_f32_e32 v0, v1, v3
	s_mov_b64 s[8:9], 0
	v_mov_b32_e32 v1, 0x7f7fffff
.LBB3_191:                              ; =>This Inner Loop Header: Depth=1
	v_mov_b32_dpp v2, v75 quad_perm:[1,0,3,2] row_mask:0xf bank_mask:0xf
	v_mov_b32_dpp v3, v0 quad_perm:[1,0,3,2] row_mask:0xf bank_mask:0xf
	v_cmp_eq_f32_e64 s[0:1], v0, v3
	v_cmp_lt_i32_e64 s[2:3], v75, v2
	v_cmp_lt_f32_e32 vcc, v0, v3
	s_and_b64 s[0:1], s[2:3], s[0:1]
	s_or_b64 vcc, vcc, s[0:1]
	v_cndmask_b32_e32 v3, v3, v0, vcc
	v_cndmask_b32_e32 v2, v2, v75, vcc
	s_nop 0
	v_mov_b32_dpp v7, v3 quad_perm:[2,3,0,1] row_mask:0xf bank_mask:0xf
	v_mov_b32_dpp v6, v2 quad_perm:[2,3,0,1] row_mask:0xf bank_mask:0xf
	v_cmp_eq_f32_e32 vcc, v3, v7
	v_cmp_lt_i32_e64 s[0:1], v2, v6
	s_and_b64 vcc, vcc, s[0:1]
	v_cmp_lt_f32_e64 s[0:1], v3, v7
	v_cndmask_b32_e32 v34, v7, v3, vcc
	s_or_b64 vcc, s[0:1], vcc
	v_cndmask_b32_e64 v3, v34, v3, s[0:1]
	v_cndmask_b32_e32 v2, v6, v2, vcc
	s_add_u32 s8, s8, 1
	v_mov_b32_dpp v7, v3 row_half_mirror row_mask:0xf bank_mask:0xf
	v_mov_b32_dpp v6, v2 row_half_mirror row_mask:0xf bank_mask:0xf
	v_min_i32_e32 v34, v2, v6
	v_cmp_eq_f32_e32 vcc, v3, v7
	v_cndmask_b32_e32 v6, v6, v34, vcc
	v_cmp_lt_f32_e32 vcc, v3, v7
	v_cndmask_b32_e32 v2, v6, v2, vcc
	v_ashrrev_i32_e32 v3, 31, v2
	v_lshrrev_b32_e32 v3, 27, v3
	v_add_u32_e32 v2, v2, v3
	v_ashrrev_i32_e32 v2, 5, v2
	s_addc_u32 s9, s9, 0
	v_cmp_eq_u32_e32 vcc, v66, v2
	v_pk_mov_b32 v[2:3], s[8:9], s[8:9] op_sel:[0,1]
	v_cndmask_b32_e32 v28, v28, v1, vcc
	v_cndmask_b32_e32 v0, v0, v1, vcc
	v_cmp_le_i64_e32 vcc, s[6:7], v[2:3]
	s_cbranch_vccz .LBB3_191
.LBB3_192:
	s_sub_u32 s72, s76, s78
	s_subb_u32 s73, s77, s79
	s_mov_b64 s[0:1], src_shared_base
	s_cmp_lg_u32 0, -1
	s_cselect_b32 s0, s1, 0
	s_cselect_b32 s1, 0, 0
	s_add_u32 s1, s1, 0xff
	s_addc_u32 s0, s0, 0
	s_and_b32 s1, s1, 0xffffff00
	v_mov_b32_e32 v0, s1
	v_mov_b32_e32 v1, s0
	v_lshlrev_b32_e32 v2, 2, v69
	v_mad_u64_u32 v[6:7], s[0:1], v2, s76, v[0:1]
	s_load_dword s33, s[4:5], 0x48
	v_mov_b32_e32 v0, v7
	v_mad_u64_u32 v[0:1], s[0:1], v2, s77, v[0:1]
	v_cmp_lt_i64_e64 s[0:1], s[72:73], 1
	v_mov_b32_e32 v7, v0
	s_and_b64 vcc, exec, s[0:1]
	v_cmp_eq_u32_e64 s[0:1], 0, v66
	s_cbranch_vccnz .LBB3_203
; %bb.193:
	s_waitcnt lgkmcnt(0)
	v_mad_u64_u32 v[0:1], s[2:3], s33, v64, 0
	s_ashr_i32 s6, s33, 31
	v_mov_b32_e32 v2, v1
	v_mad_u64_u32 v[2:3], s[2:3], s6, v64, v[2:3]
	v_mov_b32_e32 v1, v2
	v_lshlrev_b64 v[0:1], 2, v[0:1]
	v_mov_b32_e32 v2, s71
	v_add_co_u32_e32 v0, vcc, s70, v0
	v_addc_co_u32_e32 v1, vcc, v2, v1, vcc
	v_mul_u32_u24_e32 v69, 32, v66
	s_mov_b64 s[74:75], 0
	v_mov_b32_e32 v34, 0
	s_mov_b32 s84, 0x7f7fffff
	v_mov_b32_e32 v76, 0xff7fffff
	v_pk_mov_b32 v[2:3], v[6:7], v[6:7] op_sel:[0,1]
	s_branch .LBB3_195
.LBB3_194:                              ;   in Loop: Header=BB3_195 Depth=1
	s_or_b64 exec, exec, s[2:3]
	v_add_co_u32_e32 v0, vcc, 4, v0
	s_add_u32 s74, s74, 1
	v_addc_co_u32_e32 v1, vcc, 0, v1, vcc
	s_addc_u32 s75, s75, 0
	v_add_co_u32_e32 v2, vcc, 4, v2
	v_addc_co_u32_e32 v3, vcc, 0, v3, vcc
	v_pk_mov_b32 v[78:79], s[74:75], s[74:75] op_sel:[0,1]
	v_cmp_le_i64_e32 vcc, s[72:73], v[78:79]
	s_cbranch_vccnz .LBB3_204
.LBB3_195:                              ; =>This Inner Loop Header: Depth=1
	v_cmp_neq_f32_e32 vcc, s84, v28
	v_mov_b32_e32 v77, 0xff7fffff
	v_mov_b32_e32 v78, v75
	s_and_saveexec_b64 s[2:3], vcc
	s_cbranch_execz .LBB3_197
; %bb.196:                              ;   in Loop: Header=BB3_195 Depth=1
	v_cmp_gt_f32_e32 vcc, v29, v28
	v_cndmask_b32_e32 v77, v28, v29, vcc
	v_cndmask_b32_e64 v78, 0, 1, vcc
	v_cmp_gt_f32_e32 vcc, v30, v77
	v_cndmask_b32_e32 v77, v77, v30, vcc
	v_cndmask_b32_e64 v78, v78, 2, vcc
	;; [unrolled: 3-line block ×30, first 2 shown]
	v_cmp_gt_f32_e32 vcc, v74, v77
	v_cndmask_b32_e64 v78, v78, 31, vcc
	v_cndmask_b32_e32 v77, v77, v74, vcc
	v_or_b32_e32 v78, v78, v75
.LBB3_197:                              ;   in Loop: Header=BB3_195 Depth=1
	s_or_b64 exec, exec, s[2:3]
	s_nop 0
	v_mov_b32_dpp v79, v78 quad_perm:[1,0,3,2] row_mask:0xf bank_mask:0xf
	v_mov_b32_dpp v80, v77 quad_perm:[1,0,3,2] row_mask:0xf bank_mask:0xf
	v_cmp_eq_f32_e64 s[2:3], v77, v80
	v_cmp_lt_i32_e64 s[6:7], v78, v79
	v_cmp_gt_f32_e32 vcc, v77, v80
	s_and_b64 s[2:3], s[2:3], s[6:7]
	s_or_b64 vcc, vcc, s[2:3]
	v_cndmask_b32_e32 v77, v80, v77, vcc
	v_cndmask_b32_e32 v78, v79, v78, vcc
	s_nop 0
	v_mov_b32_dpp v80, v77 quad_perm:[2,3,0,1] row_mask:0xf bank_mask:0xf
	v_mov_b32_dpp v79, v78 quad_perm:[2,3,0,1] row_mask:0xf bank_mask:0xf
	v_cmp_eq_f32_e32 vcc, v77, v80
	v_cmp_lt_i32_e64 s[2:3], v78, v79
	s_and_b64 vcc, vcc, s[2:3]
	v_cmp_gt_f32_e64 s[2:3], v77, v80
	v_cndmask_b32_e32 v81, v80, v77, vcc
	s_or_b64 vcc, s[2:3], vcc
	v_cndmask_b32_e64 v77, v81, v77, s[2:3]
	v_cndmask_b32_e32 v78, v79, v78, vcc
	s_nop 0
	v_mov_b32_dpp v80, v77 row_half_mirror row_mask:0xf bank_mask:0xf
	v_mov_b32_dpp v79, v78 row_half_mirror row_mask:0xf bank_mask:0xf
	v_min_i32_e32 v81, v78, v79
	v_cmp_eq_f32_e32 vcc, v77, v80
	v_cndmask_b32_e32 v79, v79, v81, vcc
	v_cmp_gt_f32_e32 vcc, v77, v80
	v_cndmask_b32_e32 v77, v79, v78, vcc
	v_ashrrev_i32_e32 v78, 31, v77
	v_lshrrev_b32_e32 v78, 27, v78
	v_add_u32_e32 v78, v77, v78
	v_ashrrev_i32_e32 v78, 5, v78
	v_cmp_eq_u32_e32 vcc, v66, v78
	s_and_saveexec_b64 s[80:81], vcc
	s_cbranch_execz .LBB3_201
; %bb.198:                              ;   in Loop: Header=BB3_195 Depth=1
	v_sub_u32_e32 v78, v77, v69
	v_cmp_eq_u32_e32 vcc, 1, v78
	v_cmp_eq_u32_e64 s[2:3], 2, v78
	v_cmp_eq_u32_e64 s[6:7], 3, v78
	;; [unrolled: 1-line block ×30, first 2 shown]
	v_cmp_gt_u32_e64 s[66:67], 32, v78
	s_and_saveexec_b64 s[82:83], s[66:67]
	s_cbranch_execz .LBB3_200
; %bb.199:                              ;   in Loop: Header=BB3_195 Depth=1
	v_cndmask_b32_e32 v79, v67, v68, vcc
	v_cndmask_b32_e64 v79, v79, v60, s[2:3]
	v_cndmask_b32_e64 v79, v79, v62, s[6:7]
	;; [unrolled: 1-line block ×30, first 2 shown]
	flat_store_dword v[2:3], v79
.LBB3_200:                              ;   in Loop: Header=BB3_195 Depth=1
	s_or_b64 exec, exec, s[82:83]
	v_cmp_ne_u32_e64 s[66:67], 0, v78
	v_cndmask_b32_e64 v28, v76, v28, s[66:67]
	v_cndmask_b32_e32 v29, v29, v76, vcc
	v_cndmask_b32_e64 v30, v30, v76, s[2:3]
	v_cndmask_b32_e64 v31, v31, v76, s[6:7]
	;; [unrolled: 1-line block ×30, first 2 shown]
	global_store_dword v[0:1], v77, off
.LBB3_201:                              ;   in Loop: Header=BB3_195 Depth=1
	s_or_b64 exec, exec, s[80:81]
	s_waitcnt lgkmcnt(0)
	s_barrier
	s_and_saveexec_b64 s[2:3], s[0:1]
	s_cbranch_execz .LBB3_194
; %bb.202:                              ;   in Loop: Header=BB3_195 Depth=1
	flat_load_dword v77, v[2:3]
	s_waitcnt vmcnt(0) lgkmcnt(0)
	v_add_f32_e32 v34, v34, v77
	s_branch .LBB3_194
.LBB3_203:
	v_mov_b32_e32 v34, 0
.LBB3_204:
	v_cmp_eq_u32_e64 s[0:1], 0, v66
	v_cmp_gt_i64_e64 s[2:3], s[78:79], 0
	s_and_b64 s[6:7], s[0:1], s[2:3]
	s_and_saveexec_b64 s[2:3], s[6:7]
	s_cbranch_execz .LBB3_217
; %bb.205:
	v_cmp_le_u64_e32 vcc, s[78:79], v[64:65]
	v_pk_mov_b32 v[0:1], v[64:65], v[64:65] op_sel:[0,1]
	s_and_saveexec_b64 s[6:7], vcc
	s_cbranch_execz .LBB3_207
; %bb.206:
	v_cvt_f32_u32_e32 v0, s78
	s_sub_i32 s8, 0, s78
	v_rcp_iflag_f32_e32 v0, v0
	v_mul_f32_e32 v0, 0x4f7ffffe, v0
	v_cvt_u32_f32_e32 v0, v0
	v_mul_lo_u32 v1, s8, v0
	v_mul_hi_u32 v1, v0, v1
	v_add_u32_e32 v0, v0, v1
	v_mul_hi_u32 v0, v64, v0
	v_mul_lo_u32 v0, v0, s78
	v_sub_u32_e32 v0, v64, v0
	v_subrev_u32_e32 v1, s78, v0
	v_cmp_le_u32_e32 vcc, s78, v0
	v_cndmask_b32_e32 v0, v0, v1, vcc
	v_subrev_u32_e32 v1, s78, v0
	v_cmp_le_u32_e32 vcc, s78, v0
	v_cndmask_b32_e32 v0, v0, v1, vcc
	v_mov_b32_e32 v1, 0
.LBB3_207:
	s_or_b64 exec, exec, s[6:7]
	s_load_dwordx2 s[4:5], s[4:5], 0x40
	v_pk_mov_b32 v[2:3], s[72:73], s[72:73] op_sel:[0,1]
	s_waitcnt lgkmcnt(0)
	v_mad_u64_u32 v[10:11], s[6:7], s33, v64, v[2:3]
	s_ashr_i32 s8, s33, 31
	v_mov_b32_e32 v2, v11
	v_cvt_f64_f32_e32 v[8:9], v34
	v_mad_u64_u32 v[2:3], s[6:7], s8, v64, v[2:3]
	v_div_scale_f64 v[12:13], s[6:7], s[4:5], s[4:5], v[8:9]
	v_mov_b32_e32 v11, v2
	v_rcp_f64_e32 v[14:15], v[12:13]
	v_lshlrev_b64 v[2:3], 2, v[10:11]
	v_mov_b32_e32 v5, s71
	v_add_co_u32_e32 v4, vcc, s70, v2
	v_add_u32_e32 v16, 0x100, v0
	v_addc_co_u32_e32 v5, vcc, v5, v3, vcc
	global_store_dword v[4:5], v16, off
	v_fma_f64 v[16:17], -v[12:13], v[14:15], 1.0
	v_fmac_f64_e32 v[14:15], v[14:15], v[16:17]
	v_fma_f64 v[16:17], -v[12:13], v[14:15], 1.0
	v_fmac_f64_e32 v[14:15], v[14:15], v[16:17]
	v_div_scale_f64 v[16:17], vcc, v[8:9], s[4:5], v[8:9]
	v_mul_f64 v[18:19], v[16:17], v[14:15]
	v_fma_f64 v[12:13], -v[12:13], v[18:19], v[16:17]
	s_nop 1
	v_div_fmas_f64 v[12:13], v[12:13], v[14:15], v[18:19]
	v_div_fixup_f64 v[8:9], v[12:13], s[4:5], v[8:9]
	v_cvt_f32_f64_e32 v8, v[8:9]
	v_mov_b32_e32 v9, s69
	v_add_co_u32_e32 v14, vcc, s68, v2
	v_addc_co_u32_e32 v15, vcc, v9, v3, vcc
	v_cmp_lt_u64_e64 s[4:5], s[78:79], 2
	s_and_b64 vcc, exec, s[4:5]
	global_store_dword v[14:15], v8, off
	s_cbranch_vccnz .LBB3_217
; %bb.208:
	s_cmp_eq_u64 s[78:79], 2
	s_cbranch_scc1 .LBB3_213
; %bb.209:
	v_add_co_u32_e32 v2, vcc, 1, v0
	v_addc_co_u32_e32 v3, vcc, 0, v1, vcc
	s_add_u32 s4, s78, -1
	v_add_co_u32_e32 v12, vcc, 4, v4
	s_addc_u32 s5, s79, -1
	v_addc_co_u32_e32 v13, vcc, 0, v5, vcc
	s_and_b32 s6, s4, -2
	s_mov_b32 s7, s5
	v_add_co_u32_e32 v14, vcc, 4, v14
	v_pk_mov_b32 v[4:5], v[2:3], v[2:3] op_sel:[0,1]
	v_mov_b32_e32 v9, v8
	v_addc_co_u32_e32 v15, vcc, 0, v15, vcc
	s_mov_b64 s[8:9], s[6:7]
	v_pk_mov_b32 v[2:3], v[0:1], v[0:1] op_sel:[0,1]
.LBB3_210:                              ; =>This Inner Loop Header: Depth=1
	v_add_u32_e32 v17, 0x101, v4
	v_add_co_u32_e32 v4, vcc, 2, v4
	v_addc_co_u32_e32 v5, vcc, 0, v5, vcc
	v_add_u32_e32 v16, 0x101, v2
	v_add_co_u32_e32 v2, vcc, 2, v2
	v_addc_co_u32_e32 v3, vcc, 0, v3, vcc
	global_store_dwordx2 v[14:15], v[8:9], off
	v_add_co_u32_e32 v14, vcc, 8, v14
	v_addc_co_u32_e32 v15, vcc, 0, v15, vcc
	s_add_u32 s8, s8, -2
	global_store_dwordx2 v[12:13], v[16:17], off
	s_addc_u32 s9, s9, -1
	v_add_co_u32_e32 v12, vcc, 8, v12
	s_cmp_lg_u64 s[8:9], 0
	v_addc_co_u32_e32 v13, vcc, 0, v13, vcc
	s_cbranch_scc1 .LBB3_210
; %bb.211:
	s_cmp_eq_u64 s[4:5], s[6:7]
	s_cbranch_scc1 .LBB3_214
; %bb.212:
	v_mov_b32_e32 v1, s7
	v_add_co_u32_e32 v10, vcc, s6, v10
	s_or_b32 s4, s4, 1
	v_add_u32_e32 v0, s6, v0
	v_addc_co_u32_e32 v11, vcc, v11, v1, vcc
	s_cbranch_execnz .LBB3_215
	s_branch .LBB3_217
.LBB3_213:
	s_mov_b32 s4, 1
	s_cbranch_execnz .LBB3_215
	s_branch .LBB3_217
.LBB3_214:
	s_mov_b32 s4, 1
                                        ; implicit-def: $vgpr10_vgpr11
                                        ; implicit-def: $vgpr0
	s_branch .LBB3_217
.LBB3_215:
	v_add_u32_e32 v9, 0x101, v0
	v_lshlrev_b64 v[0:1], 2, v[10:11]
	v_add_co_u32_e32 v2, vcc, 4, v0
	v_addc_co_u32_e32 v3, vcc, 0, v1, vcc
	v_mov_b32_e32 v1, s69
	v_add_co_u32_e32 v0, vcc, s68, v2
	v_addc_co_u32_e32 v1, vcc, v1, v3, vcc
	v_mov_b32_e32 v4, s71
	v_add_co_u32_e32 v2, vcc, s70, v2
	s_mov_b32 s5, 0
	v_addc_co_u32_e32 v3, vcc, v4, v3, vcc
	v_pk_mov_b32 v[4:5], s[78:79], s[78:79] op_sel:[0,1]
.LBB3_216:                              ; =>This Inner Loop Header: Depth=1
	global_store_dword v[2:3], v9, off
	global_store_dword v[0:1], v8, off
	v_add_co_u32_e32 v0, vcc, 4, v0
	v_addc_co_u32_e32 v1, vcc, 0, v1, vcc
	s_add_u32 s4, s4, 1
	v_add_co_u32_e32 v2, vcc, 4, v2
	v_addc_co_u32_e32 v3, vcc, 0, v3, vcc
	s_addc_u32 s5, s5, 0
	v_cmp_lt_u64_e32 vcc, s[4:5], v[4:5]
	v_add_u32_e32 v9, 1, v9
	s_cbranch_vccnz .LBB3_216
.LBB3_217:
	s_or_b64 exec, exec, s[2:3]
	v_cmp_gt_i64_e64 s[4:5], s[76:77], 0
	s_mov_b64 s[2:3], 0
	s_and_b64 s[0:1], s[0:1], s[4:5]
	s_waitcnt lgkmcnt(0)
	s_barrier
	s_and_b64 exec, exec, s[0:1]
	s_cbranch_execz .LBB3_224
; %bb.218:
	v_mad_u64_u32 v[0:1], s[0:1], s33, v64, 0
	s_ashr_i32 s4, s33, 31
	v_mov_b32_e32 v2, v1
	v_mad_u64_u32 v[2:3], s[0:1], s4, v64, v[2:3]
	v_mov_b32_e32 v1, v2
	v_lshlrev_b64 v[0:1], 2, v[0:1]
	v_mov_b32_e32 v2, s69
	v_add_co_u32_e32 v4, vcc, s68, v0
	v_addc_co_u32_e32 v5, vcc, v2, v1, vcc
	v_cmp_lt_u64_e64 s[0:1], s[76:77], 8
	s_and_b64 vcc, exec, s[0:1]
	s_cbranch_vccnz .LBB3_221
; %bb.219:
	s_and_b32 s3, s77, 0x7fffffff
	s_and_b32 s2, s76, -8
	s_mov_b64 s[0:1], 0
	s_mov_b64 s[4:5], s[2:3]
.LBB3_220:                              ; =>This Inner Loop Header: Depth=1
	v_mov_b32_e32 v1, s1
	v_add_co_u32_e32 v2, vcc, s0, v6
	v_addc_co_u32_e32 v3, vcc, v7, v1, vcc
	flat_load_dword v8, v[2:3]
	v_add_co_u32_e32 v0, vcc, s0, v4
	v_addc_co_u32_e32 v1, vcc, v5, v1, vcc
	s_add_u32 s0, s0, 32
	s_addc_u32 s1, s1, 0
	s_add_u32 s4, s4, -8
	s_addc_u32 s5, s5, -1
	s_cmp_lg_u64 s[4:5], 0
	s_waitcnt vmcnt(0) lgkmcnt(0)
	v_div_scale_f32 v9, s[6:7], v34, v34, v8
	v_rcp_f32_e32 v11, v9
	v_div_scale_f32 v10, vcc, v8, v34, v8
	v_fma_f32 v12, -v9, v11, 1.0
	v_fmac_f32_e32 v11, v12, v11
	v_mul_f32_e32 v12, v10, v11
	v_fma_f32 v13, -v9, v12, v10
	v_fmac_f32_e32 v12, v13, v11
	v_fma_f32 v9, -v9, v12, v10
	v_div_fmas_f32 v9, v9, v11, v12
	v_div_fixup_f32 v8, v9, v34, v8
	global_store_dword v[0:1], v8, off
	flat_load_dword v8, v[2:3] offset:4
	s_waitcnt vmcnt(0) lgkmcnt(0)
	v_div_scale_f32 v9, s[6:7], v34, v34, v8
	v_rcp_f32_e32 v11, v9
	v_div_scale_f32 v10, vcc, v8, v34, v8
	v_fma_f32 v12, -v9, v11, 1.0
	v_fmac_f32_e32 v11, v12, v11
	v_mul_f32_e32 v12, v10, v11
	v_fma_f32 v13, -v9, v12, v10
	v_fmac_f32_e32 v12, v13, v11
	v_fma_f32 v9, -v9, v12, v10
	v_div_fmas_f32 v9, v9, v11, v12
	v_div_fixup_f32 v8, v9, v34, v8
	global_store_dword v[0:1], v8, off offset:4
	flat_load_dword v8, v[2:3] offset:8
	s_waitcnt vmcnt(0) lgkmcnt(0)
	v_div_scale_f32 v9, s[6:7], v34, v34, v8
	v_rcp_f32_e32 v11, v9
	v_div_scale_f32 v10, vcc, v8, v34, v8
	v_fma_f32 v12, -v9, v11, 1.0
	v_fmac_f32_e32 v11, v12, v11
	v_mul_f32_e32 v12, v10, v11
	v_fma_f32 v13, -v9, v12, v10
	v_fmac_f32_e32 v12, v13, v11
	v_fma_f32 v9, -v9, v12, v10
	v_div_fmas_f32 v9, v9, v11, v12
	v_div_fixup_f32 v8, v9, v34, v8
	global_store_dword v[0:1], v8, off offset:8
	;; [unrolled: 14-line block ×7, first 2 shown]
	s_cbranch_scc1 .LBB3_220
.LBB3_221:
	s_and_b32 s0, s76, 7
	s_mov_b32 s1, 0
	s_cmp_eq_u64 s[0:1], 0
	s_cbranch_scc1 .LBB3_224
; %bb.222:
	s_mov_b64 s[4:5], s[0:1]
.LBB3_223:                              ; =>This Inner Loop Header: Depth=1
	s_lshl_b64 s[6:7], s[2:3], 2
	v_mov_b32_e32 v2, s7
	v_add_co_u32_e32 v0, vcc, s6, v6
	v_addc_co_u32_e32 v1, vcc, v7, v2, vcc
	flat_load_dword v3, v[0:1]
	v_add_co_u32_e32 v0, vcc, s6, v4
	v_addc_co_u32_e32 v1, vcc, v5, v2, vcc
	s_add_i32 s0, s2, 1
	s_add_u32 s4, s4, -1
	s_addc_u32 s5, s5, -1
	s_mov_b64 s[2:3], s[0:1]
	s_cmp_lg_u64 s[4:5], 0
	s_waitcnt vmcnt(0) lgkmcnt(0)
	v_div_scale_f32 v2, s[6:7], v34, v34, v3
	v_rcp_f32_e32 v8, v2
	v_div_scale_f32 v9, vcc, v3, v34, v3
	v_fma_f32 v10, -v2, v8, 1.0
	v_fmac_f32_e32 v8, v10, v8
	v_mul_f32_e32 v10, v9, v8
	v_fma_f32 v11, -v2, v10, v9
	v_fmac_f32_e32 v10, v11, v8
	v_fma_f32 v2, -v2, v10, v9
	v_div_fmas_f32 v2, v2, v8, v10
	v_div_fixup_f32 v2, v2, v34, v3
	global_store_dword v[0:1], v2, off
	s_cbranch_scc1 .LBB3_223
.LBB3_224:
	s_endpgm
	.section	.rodata,"a",@progbits
	.p2align	6, 0x0
	.amdhsa_kernel _Z21moe_fused_gate_kernelIfLi32ELi256ELi8ELi1EEvPvS0_PfPilllldi
		.amdhsa_group_segment_fixed_size 0
		.amdhsa_private_segment_fixed_size 0
		.amdhsa_kernarg_size 76
		.amdhsa_user_sgpr_count 6
		.amdhsa_user_sgpr_private_segment_buffer 1
		.amdhsa_user_sgpr_dispatch_ptr 0
		.amdhsa_user_sgpr_queue_ptr 0
		.amdhsa_user_sgpr_kernarg_segment_ptr 1
		.amdhsa_user_sgpr_dispatch_id 0
		.amdhsa_user_sgpr_flat_scratch_init 0
		.amdhsa_user_sgpr_kernarg_preload_length 0
		.amdhsa_user_sgpr_kernarg_preload_offset 0
		.amdhsa_user_sgpr_private_segment_size 0
		.amdhsa_uses_dynamic_stack 0
		.amdhsa_system_sgpr_private_segment_wavefront_offset 0
		.amdhsa_system_sgpr_workgroup_id_x 1
		.amdhsa_system_sgpr_workgroup_id_y 0
		.amdhsa_system_sgpr_workgroup_id_z 0
		.amdhsa_system_sgpr_workgroup_info 0
		.amdhsa_system_vgpr_workitem_id 1
		.amdhsa_next_free_vgpr 82
		.amdhsa_next_free_sgpr 85
		.amdhsa_accum_offset 84
		.amdhsa_reserve_vcc 1
		.amdhsa_reserve_flat_scratch 0
		.amdhsa_float_round_mode_32 0
		.amdhsa_float_round_mode_16_64 0
		.amdhsa_float_denorm_mode_32 3
		.amdhsa_float_denorm_mode_16_64 3
		.amdhsa_dx10_clamp 1
		.amdhsa_ieee_mode 1
		.amdhsa_fp16_overflow 0
		.amdhsa_tg_split 0
		.amdhsa_exception_fp_ieee_invalid_op 0
		.amdhsa_exception_fp_denorm_src 0
		.amdhsa_exception_fp_ieee_div_zero 0
		.amdhsa_exception_fp_ieee_overflow 0
		.amdhsa_exception_fp_ieee_underflow 0
		.amdhsa_exception_fp_ieee_inexact 0
		.amdhsa_exception_int_div_zero 0
	.end_amdhsa_kernel
	.section	.text._Z21moe_fused_gate_kernelIfLi32ELi256ELi8ELi1EEvPvS0_PfPilllldi,"axG",@progbits,_Z21moe_fused_gate_kernelIfLi32ELi256ELi8ELi1EEvPvS0_PfPilllldi,comdat
.Lfunc_end3:
	.size	_Z21moe_fused_gate_kernelIfLi32ELi256ELi8ELi1EEvPvS0_PfPilllldi, .Lfunc_end3-_Z21moe_fused_gate_kernelIfLi32ELi256ELi8ELi1EEvPvS0_PfPilllldi
                                        ; -- End function
	.section	.AMDGPU.csdata,"",@progbits
; Kernel info:
; codeLenInByte = 11936
; NumSgprs: 89
; NumVgprs: 82
; NumAgprs: 0
; TotalNumVgprs: 82
; ScratchSize: 0
; MemoryBound: 1
; FloatMode: 240
; IeeeMode: 1
; LDSByteSize: 0 bytes/workgroup (compile time only)
; SGPRBlocks: 11
; VGPRBlocks: 10
; NumSGPRsForWavesPerEU: 89
; NumVGPRsForWavesPerEU: 82
; AccumOffset: 84
; Occupancy: 5
; WaveLimiterHint : 0
; COMPUTE_PGM_RSRC2:SCRATCH_EN: 0
; COMPUTE_PGM_RSRC2:USER_SGPR: 6
; COMPUTE_PGM_RSRC2:TRAP_HANDLER: 0
; COMPUTE_PGM_RSRC2:TGID_X_EN: 1
; COMPUTE_PGM_RSRC2:TGID_Y_EN: 0
; COMPUTE_PGM_RSRC2:TGID_Z_EN: 0
; COMPUTE_PGM_RSRC2:TIDIG_COMP_CNT: 1
; COMPUTE_PGM_RSRC3_GFX90A:ACCUM_OFFSET: 20
; COMPUTE_PGM_RSRC3_GFX90A:TG_SPLIT: 0
	.section	.text._Z21moe_fused_gate_kernelItLi16ELi256ELi16ELi1EEvPvS0_PfPilllldi,"axG",@progbits,_Z21moe_fused_gate_kernelItLi16ELi256ELi16ELi1EEvPvS0_PfPilllldi,comdat
	.protected	_Z21moe_fused_gate_kernelItLi16ELi256ELi16ELi1EEvPvS0_PfPilllldi ; -- Begin function _Z21moe_fused_gate_kernelItLi16ELi256ELi16ELi1EEvPvS0_PfPilllldi
	.globl	_Z21moe_fused_gate_kernelItLi16ELi256ELi16ELi1EEvPvS0_PfPilllldi
	.p2align	8
	.type	_Z21moe_fused_gate_kernelItLi16ELi256ELi16ELi1EEvPvS0_PfPilllldi,@function
_Z21moe_fused_gate_kernelItLi16ELi256ELi16ELi1EEvPvS0_PfPilllldi: ; @_Z21moe_fused_gate_kernelItLi16ELi256ELi16ELi1EEvPvS0_PfPilllldi
; %bb.0:
	s_load_dwordx16 s[36:51], s[4:5], 0x0
	v_and_b32_e32 v1, 0x3ff, v0
	v_bfe_u32 v0, v0, 10, 10
	v_add_u32_e32 v0, s6, v0
	v_lshrrev_b32_e32 v34, 4, v1
	v_mov_b32_e32 v37, 0
	v_lshl_add_u32 v16, v0, 2, v34
	v_mov_b32_e32 v17, v37
	s_waitcnt lgkmcnt(0)
	v_cmp_gt_i64_e32 vcc, s[44:45], v[16:17]
	s_and_saveexec_b64 s[0:1], vcc
	s_cbranch_execz .LBB4_128
; %bb.1:
	v_lshlrev_b64 v[2:3], 9, v[16:17]
	v_mov_b32_e32 v0, s37
	v_add_co_u32_e32 v2, vcc, s36, v2
	v_and_b32_e32 v36, 15, v1
	v_addc_co_u32_e32 v0, vcc, v0, v3, vcc
	v_lshlrev_b32_e32 v20, 5, v36
	v_add_co_u32_e32 v18, vcc, v2, v20
	v_addc_co_u32_e32 v19, vcc, 0, v0, vcc
	global_load_dwordx4 v[8:11], v[18:19], off offset:16
	global_load_dwordx4 v[12:15], v[18:19], off
	global_load_dwordx4 v[0:3], v20, s[38:39] offset:16
	global_load_dwordx4 v[4:7], v20, s[38:39]
	s_waitcnt vmcnt(2)
	v_lshlrev_b32_e32 v18, 16, v12
	v_cmp_o_f32_e32 vcc, v18, v18
	s_and_saveexec_b64 s[0:1], vcc
	s_cbranch_execz .LBB4_3
; %bb.2:
	v_mul_f32_e32 v19, 0xbfb8aa3b, v18
	s_mov_b32 s2, 0xbfb8aa3b
	v_rndne_f32_e32 v20, v19
	v_sub_f32_e32 v21, v19, v20
	v_fma_f32 v19, v18, s2, -v19
	v_fmac_f32_e32 v19, 0xb2a5705f, v18
	v_add_f32_e32 v19, v21, v19
	v_exp_f32_e32 v19, v19
	v_cvt_i32_f32_e32 v20, v20
	s_mov_b32 s2, 0x42ce8ed0
	v_cmp_nlt_f32_e32 vcc, s2, v18
	s_mov_b32 s2, 0xc2b17218
	v_ldexp_f32 v19, v19, v20
	v_cndmask_b32_e32 v19, 0, v19, vcc
	v_mov_b32_e32 v20, 0x7f800000
	v_cmp_ngt_f32_e32 vcc, s2, v18
	v_cndmask_b32_e32 v18, v20, v19, vcc
	v_add_f32_e32 v18, 1.0, v18
	v_div_scale_f32 v19, s[2:3], v18, v18, 1.0
	v_rcp_f32_e32 v20, v19
	v_fma_f32 v21, -v19, v20, 1.0
	v_fmac_f32_e32 v20, v21, v20
	v_div_scale_f32 v21, vcc, 1.0, v18, 1.0
	v_mul_f32_e32 v22, v21, v20
	v_fma_f32 v23, -v19, v22, v21
	v_fmac_f32_e32 v22, v23, v20
	v_fma_f32 v19, -v19, v22, v21
	v_div_fmas_f32 v19, v19, v20, v22
	v_div_fixup_f32 v37, v19, v18, 1.0
.LBB4_3:
	s_or_b64 exec, exec, s[0:1]
	v_and_b32_e32 v12, 0xffff0000, v12
	v_cmp_o_f32_e32 vcc, v12, v12
	v_mov_b32_e32 v19, 0
	v_mov_b32_e32 v18, 0
	s_and_saveexec_b64 s[0:1], vcc
	s_cbranch_execz .LBB4_5
; %bb.4:
	v_mul_f32_e32 v18, 0xbfb8aa3b, v12
	s_mov_b32 s2, 0xbfb8aa3b
	v_rndne_f32_e32 v20, v18
	v_sub_f32_e32 v21, v18, v20
	v_fma_f32 v18, v12, s2, -v18
	v_fmac_f32_e32 v18, 0xb2a5705f, v12
	v_add_f32_e32 v18, v21, v18
	v_exp_f32_e32 v18, v18
	v_cvt_i32_f32_e32 v20, v20
	s_mov_b32 s2, 0x42ce8ed0
	v_cmp_nlt_f32_e32 vcc, s2, v12
	s_mov_b32 s2, 0xc2b17218
	v_ldexp_f32 v18, v18, v20
	v_cndmask_b32_e32 v18, 0, v18, vcc
	v_mov_b32_e32 v20, 0x7f800000
	v_cmp_ngt_f32_e32 vcc, s2, v12
	v_cndmask_b32_e32 v12, v20, v18, vcc
	v_add_f32_e32 v12, 1.0, v12
	v_div_scale_f32 v18, s[2:3], v12, v12, 1.0
	v_rcp_f32_e32 v20, v18
	v_fma_f32 v21, -v18, v20, 1.0
	v_fmac_f32_e32 v20, v21, v20
	v_div_scale_f32 v21, vcc, 1.0, v12, 1.0
	v_mul_f32_e32 v22, v21, v20
	v_fma_f32 v23, -v18, v22, v21
	v_fmac_f32_e32 v22, v23, v20
	v_fma_f32 v18, -v18, v22, v21
	v_div_fmas_f32 v18, v18, v20, v22
	v_div_fixup_f32 v18, v18, v12, 1.0
.LBB4_5:
	s_or_b64 exec, exec, s[0:1]
	v_lshlrev_b32_e32 v12, 16, v13
	v_cmp_o_f32_e32 vcc, v12, v12
	s_and_saveexec_b64 s[0:1], vcc
	s_cbranch_execz .LBB4_7
; %bb.6:
	v_mul_f32_e32 v19, 0xbfb8aa3b, v12
	s_mov_b32 s2, 0xbfb8aa3b
	v_rndne_f32_e32 v20, v19
	v_sub_f32_e32 v21, v19, v20
	v_fma_f32 v19, v12, s2, -v19
	v_fmac_f32_e32 v19, 0xb2a5705f, v12
	v_add_f32_e32 v19, v21, v19
	v_exp_f32_e32 v19, v19
	v_cvt_i32_f32_e32 v20, v20
	s_mov_b32 s2, 0x42ce8ed0
	v_cmp_nlt_f32_e32 vcc, s2, v12
	s_mov_b32 s2, 0xc2b17218
	v_ldexp_f32 v19, v19, v20
	v_cndmask_b32_e32 v19, 0, v19, vcc
	v_mov_b32_e32 v20, 0x7f800000
	v_cmp_ngt_f32_e32 vcc, s2, v12
	v_cndmask_b32_e32 v12, v20, v19, vcc
	v_add_f32_e32 v12, 1.0, v12
	v_div_scale_f32 v19, s[2:3], v12, v12, 1.0
	v_rcp_f32_e32 v20, v19
	v_fma_f32 v21, -v19, v20, 1.0
	v_fmac_f32_e32 v20, v21, v20
	v_div_scale_f32 v21, vcc, 1.0, v12, 1.0
	v_mul_f32_e32 v22, v21, v20
	v_fma_f32 v23, -v19, v22, v21
	v_fmac_f32_e32 v22, v23, v20
	v_fma_f32 v19, -v19, v22, v21
	v_div_fmas_f32 v19, v19, v20, v22
	v_div_fixup_f32 v19, v19, v12, 1.0
.LBB4_7:
	s_or_b64 exec, exec, s[0:1]
	v_and_b32_e32 v20, 0xffff0000, v13
	v_cmp_o_f32_e32 vcc, v20, v20
	v_mov_b32_e32 v13, 0
	v_mov_b32_e32 v12, 0
	s_and_saveexec_b64 s[0:1], vcc
	s_cbranch_execz .LBB4_9
; %bb.8:
	v_mul_f32_e32 v12, 0xbfb8aa3b, v20
	s_mov_b32 s2, 0xbfb8aa3b
	v_rndne_f32_e32 v21, v12
	v_sub_f32_e32 v22, v12, v21
	v_fma_f32 v12, v20, s2, -v12
	v_fmac_f32_e32 v12, 0xb2a5705f, v20
	v_add_f32_e32 v12, v22, v12
	v_exp_f32_e32 v12, v12
	v_cvt_i32_f32_e32 v21, v21
	s_mov_b32 s2, 0x42ce8ed0
	v_cmp_nlt_f32_e32 vcc, s2, v20
	s_mov_b32 s2, 0xc2b17218
	v_ldexp_f32 v12, v12, v21
	v_cndmask_b32_e32 v12, 0, v12, vcc
	v_mov_b32_e32 v21, 0x7f800000
	v_cmp_ngt_f32_e32 vcc, s2, v20
	v_cndmask_b32_e32 v12, v21, v12, vcc
	v_add_f32_e32 v12, 1.0, v12
	v_div_scale_f32 v20, s[2:3], v12, v12, 1.0
	v_rcp_f32_e32 v21, v20
	v_fma_f32 v22, -v20, v21, 1.0
	v_fmac_f32_e32 v21, v22, v21
	v_div_scale_f32 v22, vcc, 1.0, v12, 1.0
	v_mul_f32_e32 v23, v22, v21
	v_fma_f32 v24, -v20, v23, v22
	v_fmac_f32_e32 v23, v24, v21
	v_fma_f32 v20, -v20, v23, v22
	v_div_fmas_f32 v20, v20, v21, v23
	v_div_fixup_f32 v12, v20, v12, 1.0
.LBB4_9:
	s_or_b64 exec, exec, s[0:1]
	v_lshlrev_b32_e32 v20, 16, v14
	v_cmp_o_f32_e32 vcc, v20, v20
	s_and_saveexec_b64 s[0:1], vcc
	s_cbranch_execz .LBB4_11
; %bb.10:
	v_mul_f32_e32 v13, 0xbfb8aa3b, v20
	s_mov_b32 s2, 0xbfb8aa3b
	v_rndne_f32_e32 v21, v13
	v_sub_f32_e32 v22, v13, v21
	v_fma_f32 v13, v20, s2, -v13
	v_fmac_f32_e32 v13, 0xb2a5705f, v20
	v_add_f32_e32 v13, v22, v13
	v_exp_f32_e32 v13, v13
	v_cvt_i32_f32_e32 v21, v21
	s_mov_b32 s2, 0x42ce8ed0
	v_cmp_nlt_f32_e32 vcc, s2, v20
	s_mov_b32 s2, 0xc2b17218
	v_ldexp_f32 v13, v13, v21
	v_cndmask_b32_e32 v13, 0, v13, vcc
	v_mov_b32_e32 v21, 0x7f800000
	v_cmp_ngt_f32_e32 vcc, s2, v20
	v_cndmask_b32_e32 v13, v21, v13, vcc
	v_add_f32_e32 v13, 1.0, v13
	v_div_scale_f32 v20, s[2:3], v13, v13, 1.0
	v_rcp_f32_e32 v21, v20
	v_fma_f32 v22, -v20, v21, 1.0
	v_fmac_f32_e32 v21, v22, v21
	v_div_scale_f32 v22, vcc, 1.0, v13, 1.0
	v_mul_f32_e32 v23, v22, v21
	v_fma_f32 v24, -v20, v23, v22
	v_fmac_f32_e32 v23, v24, v21
	v_fma_f32 v20, -v20, v23, v22
	v_div_fmas_f32 v20, v20, v21, v23
	v_div_fixup_f32 v13, v20, v13, 1.0
.LBB4_11:
	s_or_b64 exec, exec, s[0:1]
	v_and_b32_e32 v14, 0xffff0000, v14
	v_cmp_o_f32_e32 vcc, v14, v14
	v_mov_b32_e32 v21, 0
	v_mov_b32_e32 v20, 0
	s_and_saveexec_b64 s[0:1], vcc
	s_cbranch_execz .LBB4_13
; %bb.12:
	v_mul_f32_e32 v20, 0xbfb8aa3b, v14
	s_mov_b32 s2, 0xbfb8aa3b
	v_rndne_f32_e32 v22, v20
	v_sub_f32_e32 v23, v20, v22
	v_fma_f32 v20, v14, s2, -v20
	v_fmac_f32_e32 v20, 0xb2a5705f, v14
	v_add_f32_e32 v20, v23, v20
	v_exp_f32_e32 v20, v20
	v_cvt_i32_f32_e32 v22, v22
	s_mov_b32 s2, 0x42ce8ed0
	v_cmp_nlt_f32_e32 vcc, s2, v14
	s_mov_b32 s2, 0xc2b17218
	v_ldexp_f32 v20, v20, v22
	v_cndmask_b32_e32 v20, 0, v20, vcc
	v_mov_b32_e32 v22, 0x7f800000
	v_cmp_ngt_f32_e32 vcc, s2, v14
	v_cndmask_b32_e32 v14, v22, v20, vcc
	v_add_f32_e32 v14, 1.0, v14
	v_div_scale_f32 v20, s[2:3], v14, v14, 1.0
	v_rcp_f32_e32 v22, v20
	v_fma_f32 v23, -v20, v22, 1.0
	v_fmac_f32_e32 v22, v23, v22
	v_div_scale_f32 v23, vcc, 1.0, v14, 1.0
	v_mul_f32_e32 v24, v23, v22
	v_fma_f32 v25, -v20, v24, v23
	v_fmac_f32_e32 v24, v25, v22
	v_fma_f32 v20, -v20, v24, v23
	v_div_fmas_f32 v20, v20, v22, v24
	v_div_fixup_f32 v20, v20, v14, 1.0
.LBB4_13:
	s_or_b64 exec, exec, s[0:1]
	v_lshlrev_b32_e32 v14, 16, v15
	v_cmp_o_f32_e32 vcc, v14, v14
	s_and_saveexec_b64 s[0:1], vcc
	s_cbranch_execz .LBB4_15
; %bb.14:
	v_mul_f32_e32 v21, 0xbfb8aa3b, v14
	s_mov_b32 s2, 0xbfb8aa3b
	v_rndne_f32_e32 v22, v21
	v_sub_f32_e32 v23, v21, v22
	v_fma_f32 v21, v14, s2, -v21
	v_fmac_f32_e32 v21, 0xb2a5705f, v14
	v_add_f32_e32 v21, v23, v21
	v_exp_f32_e32 v21, v21
	v_cvt_i32_f32_e32 v22, v22
	s_mov_b32 s2, 0x42ce8ed0
	v_cmp_nlt_f32_e32 vcc, s2, v14
	s_mov_b32 s2, 0xc2b17218
	v_ldexp_f32 v21, v21, v22
	v_cndmask_b32_e32 v21, 0, v21, vcc
	v_mov_b32_e32 v22, 0x7f800000
	v_cmp_ngt_f32_e32 vcc, s2, v14
	v_cndmask_b32_e32 v14, v22, v21, vcc
	v_add_f32_e32 v14, 1.0, v14
	v_div_scale_f32 v21, s[2:3], v14, v14, 1.0
	v_rcp_f32_e32 v22, v21
	v_fma_f32 v23, -v21, v22, 1.0
	v_fmac_f32_e32 v22, v23, v22
	v_div_scale_f32 v23, vcc, 1.0, v14, 1.0
	v_mul_f32_e32 v24, v23, v22
	v_fma_f32 v25, -v21, v24, v23
	v_fmac_f32_e32 v24, v25, v22
	v_fma_f32 v21, -v21, v24, v23
	v_div_fmas_f32 v21, v21, v22, v24
	v_div_fixup_f32 v21, v21, v14, 1.0
.LBB4_15:
	s_or_b64 exec, exec, s[0:1]
	v_and_b32_e32 v22, 0xffff0000, v15
	v_cmp_o_f32_e32 vcc, v22, v22
	v_mov_b32_e32 v15, 0
	v_mov_b32_e32 v14, 0
	s_and_saveexec_b64 s[0:1], vcc
	s_cbranch_execz .LBB4_17
; %bb.16:
	v_mul_f32_e32 v14, 0xbfb8aa3b, v22
	s_mov_b32 s2, 0xbfb8aa3b
	v_rndne_f32_e32 v23, v14
	v_sub_f32_e32 v24, v14, v23
	v_fma_f32 v14, v22, s2, -v14
	v_fmac_f32_e32 v14, 0xb2a5705f, v22
	v_add_f32_e32 v14, v24, v14
	v_exp_f32_e32 v14, v14
	v_cvt_i32_f32_e32 v23, v23
	s_mov_b32 s2, 0x42ce8ed0
	v_cmp_nlt_f32_e32 vcc, s2, v22
	s_mov_b32 s2, 0xc2b17218
	v_ldexp_f32 v14, v14, v23
	v_cndmask_b32_e32 v14, 0, v14, vcc
	v_mov_b32_e32 v23, 0x7f800000
	v_cmp_ngt_f32_e32 vcc, s2, v22
	v_cndmask_b32_e32 v14, v23, v14, vcc
	v_add_f32_e32 v14, 1.0, v14
	v_div_scale_f32 v22, s[2:3], v14, v14, 1.0
	v_rcp_f32_e32 v23, v22
	v_fma_f32 v24, -v22, v23, 1.0
	v_fmac_f32_e32 v23, v24, v23
	v_div_scale_f32 v24, vcc, 1.0, v14, 1.0
	v_mul_f32_e32 v25, v24, v23
	v_fma_f32 v26, -v22, v25, v24
	v_fmac_f32_e32 v25, v26, v23
	v_fma_f32 v22, -v22, v25, v24
	v_div_fmas_f32 v22, v22, v23, v25
	v_div_fixup_f32 v14, v22, v14, 1.0
.LBB4_17:
	s_or_b64 exec, exec, s[0:1]
	v_lshlrev_b32_e32 v22, 16, v8
	v_cmp_o_f32_e32 vcc, v22, v22
	s_and_saveexec_b64 s[0:1], vcc
	s_cbranch_execz .LBB4_19
; %bb.18:
	v_mul_f32_e32 v15, 0xbfb8aa3b, v22
	s_mov_b32 s2, 0xbfb8aa3b
	v_rndne_f32_e32 v23, v15
	v_sub_f32_e32 v24, v15, v23
	v_fma_f32 v15, v22, s2, -v15
	v_fmac_f32_e32 v15, 0xb2a5705f, v22
	v_add_f32_e32 v15, v24, v15
	v_exp_f32_e32 v15, v15
	v_cvt_i32_f32_e32 v23, v23
	s_mov_b32 s2, 0x42ce8ed0
	v_cmp_nlt_f32_e32 vcc, s2, v22
	s_mov_b32 s2, 0xc2b17218
	v_ldexp_f32 v15, v15, v23
	v_cndmask_b32_e32 v15, 0, v15, vcc
	v_mov_b32_e32 v23, 0x7f800000
	v_cmp_ngt_f32_e32 vcc, s2, v22
	v_cndmask_b32_e32 v15, v23, v15, vcc
	v_add_f32_e32 v15, 1.0, v15
	v_div_scale_f32 v22, s[2:3], v15, v15, 1.0
	v_rcp_f32_e32 v23, v22
	v_fma_f32 v24, -v22, v23, 1.0
	v_fmac_f32_e32 v23, v24, v23
	v_div_scale_f32 v24, vcc, 1.0, v15, 1.0
	v_mul_f32_e32 v25, v24, v23
	v_fma_f32 v26, -v22, v25, v24
	v_fmac_f32_e32 v25, v26, v23
	v_fma_f32 v22, -v22, v25, v24
	v_div_fmas_f32 v22, v22, v23, v25
	v_div_fixup_f32 v15, v22, v15, 1.0
.LBB4_19:
	s_or_b64 exec, exec, s[0:1]
	v_and_b32_e32 v8, 0xffff0000, v8
	v_cmp_o_f32_e32 vcc, v8, v8
	v_mov_b32_e32 v23, 0
	v_mov_b32_e32 v22, 0
	s_and_saveexec_b64 s[0:1], vcc
	s_cbranch_execz .LBB4_21
; %bb.20:
	v_mul_f32_e32 v22, 0xbfb8aa3b, v8
	s_mov_b32 s2, 0xbfb8aa3b
	v_rndne_f32_e32 v24, v22
	v_sub_f32_e32 v25, v22, v24
	v_fma_f32 v22, v8, s2, -v22
	v_fmac_f32_e32 v22, 0xb2a5705f, v8
	v_add_f32_e32 v22, v25, v22
	v_exp_f32_e32 v22, v22
	v_cvt_i32_f32_e32 v24, v24
	s_mov_b32 s2, 0x42ce8ed0
	v_cmp_nlt_f32_e32 vcc, s2, v8
	s_mov_b32 s2, 0xc2b17218
	v_ldexp_f32 v22, v22, v24
	v_cndmask_b32_e32 v22, 0, v22, vcc
	v_mov_b32_e32 v24, 0x7f800000
	v_cmp_ngt_f32_e32 vcc, s2, v8
	v_cndmask_b32_e32 v8, v24, v22, vcc
	v_add_f32_e32 v8, 1.0, v8
	v_div_scale_f32 v22, s[2:3], v8, v8, 1.0
	v_rcp_f32_e32 v24, v22
	v_fma_f32 v25, -v22, v24, 1.0
	v_fmac_f32_e32 v24, v25, v24
	v_div_scale_f32 v25, vcc, 1.0, v8, 1.0
	v_mul_f32_e32 v26, v25, v24
	v_fma_f32 v27, -v22, v26, v25
	v_fmac_f32_e32 v26, v27, v24
	v_fma_f32 v22, -v22, v26, v25
	v_div_fmas_f32 v22, v22, v24, v26
	v_div_fixup_f32 v22, v22, v8, 1.0
.LBB4_21:
	s_or_b64 exec, exec, s[0:1]
	v_lshlrev_b32_e32 v8, 16, v9
	v_cmp_o_f32_e32 vcc, v8, v8
	s_and_saveexec_b64 s[0:1], vcc
	s_cbranch_execz .LBB4_23
; %bb.22:
	v_mul_f32_e32 v23, 0xbfb8aa3b, v8
	s_mov_b32 s2, 0xbfb8aa3b
	v_rndne_f32_e32 v24, v23
	v_sub_f32_e32 v25, v23, v24
	v_fma_f32 v23, v8, s2, -v23
	v_fmac_f32_e32 v23, 0xb2a5705f, v8
	v_add_f32_e32 v23, v25, v23
	v_exp_f32_e32 v23, v23
	v_cvt_i32_f32_e32 v24, v24
	s_mov_b32 s2, 0x42ce8ed0
	v_cmp_nlt_f32_e32 vcc, s2, v8
	s_mov_b32 s2, 0xc2b17218
	v_ldexp_f32 v23, v23, v24
	v_cndmask_b32_e32 v23, 0, v23, vcc
	v_mov_b32_e32 v24, 0x7f800000
	v_cmp_ngt_f32_e32 vcc, s2, v8
	v_cndmask_b32_e32 v8, v24, v23, vcc
	v_add_f32_e32 v8, 1.0, v8
	v_div_scale_f32 v23, s[2:3], v8, v8, 1.0
	v_rcp_f32_e32 v24, v23
	v_fma_f32 v25, -v23, v24, 1.0
	v_fmac_f32_e32 v24, v25, v24
	v_div_scale_f32 v25, vcc, 1.0, v8, 1.0
	v_mul_f32_e32 v26, v25, v24
	v_fma_f32 v27, -v23, v26, v25
	v_fmac_f32_e32 v26, v27, v24
	v_fma_f32 v23, -v23, v26, v25
	v_div_fmas_f32 v23, v23, v24, v26
	v_div_fixup_f32 v23, v23, v8, 1.0
.LBB4_23:
	s_or_b64 exec, exec, s[0:1]
	v_and_b32_e32 v24, 0xffff0000, v9
	v_cmp_o_f32_e32 vcc, v24, v24
	v_mov_b32_e32 v9, 0
	v_mov_b32_e32 v8, 0
	s_and_saveexec_b64 s[0:1], vcc
	s_cbranch_execz .LBB4_25
; %bb.24:
	v_mul_f32_e32 v8, 0xbfb8aa3b, v24
	s_mov_b32 s2, 0xbfb8aa3b
	v_rndne_f32_e32 v25, v8
	v_sub_f32_e32 v26, v8, v25
	v_fma_f32 v8, v24, s2, -v8
	v_fmac_f32_e32 v8, 0xb2a5705f, v24
	v_add_f32_e32 v8, v26, v8
	v_exp_f32_e32 v8, v8
	v_cvt_i32_f32_e32 v25, v25
	s_mov_b32 s2, 0x42ce8ed0
	v_cmp_nlt_f32_e32 vcc, s2, v24
	s_mov_b32 s2, 0xc2b17218
	v_ldexp_f32 v8, v8, v25
	v_cndmask_b32_e32 v8, 0, v8, vcc
	v_mov_b32_e32 v25, 0x7f800000
	v_cmp_ngt_f32_e32 vcc, s2, v24
	v_cndmask_b32_e32 v8, v25, v8, vcc
	v_add_f32_e32 v8, 1.0, v8
	v_div_scale_f32 v24, s[2:3], v8, v8, 1.0
	v_rcp_f32_e32 v25, v24
	v_fma_f32 v26, -v24, v25, 1.0
	v_fmac_f32_e32 v25, v26, v25
	v_div_scale_f32 v26, vcc, 1.0, v8, 1.0
	v_mul_f32_e32 v27, v26, v25
	v_fma_f32 v28, -v24, v27, v26
	v_fmac_f32_e32 v27, v28, v25
	v_fma_f32 v24, -v24, v27, v26
	v_div_fmas_f32 v24, v24, v25, v27
	v_div_fixup_f32 v8, v24, v8, 1.0
.LBB4_25:
	s_or_b64 exec, exec, s[0:1]
	v_lshlrev_b32_e32 v24, 16, v10
	v_cmp_o_f32_e32 vcc, v24, v24
	s_and_saveexec_b64 s[0:1], vcc
	s_cbranch_execz .LBB4_27
; %bb.26:
	v_mul_f32_e32 v9, 0xbfb8aa3b, v24
	s_mov_b32 s2, 0xbfb8aa3b
	v_rndne_f32_e32 v25, v9
	v_sub_f32_e32 v26, v9, v25
	v_fma_f32 v9, v24, s2, -v9
	v_fmac_f32_e32 v9, 0xb2a5705f, v24
	v_add_f32_e32 v9, v26, v9
	v_exp_f32_e32 v9, v9
	v_cvt_i32_f32_e32 v25, v25
	s_mov_b32 s2, 0x42ce8ed0
	v_cmp_nlt_f32_e32 vcc, s2, v24
	s_mov_b32 s2, 0xc2b17218
	v_ldexp_f32 v9, v9, v25
	v_cndmask_b32_e32 v9, 0, v9, vcc
	v_mov_b32_e32 v25, 0x7f800000
	v_cmp_ngt_f32_e32 vcc, s2, v24
	v_cndmask_b32_e32 v9, v25, v9, vcc
	v_add_f32_e32 v9, 1.0, v9
	v_div_scale_f32 v24, s[2:3], v9, v9, 1.0
	v_rcp_f32_e32 v25, v24
	v_fma_f32 v26, -v24, v25, 1.0
	v_fmac_f32_e32 v25, v26, v25
	v_div_scale_f32 v26, vcc, 1.0, v9, 1.0
	v_mul_f32_e32 v27, v26, v25
	v_fma_f32 v28, -v24, v27, v26
	v_fmac_f32_e32 v27, v28, v25
	v_fma_f32 v24, -v24, v27, v26
	v_div_fmas_f32 v24, v24, v25, v27
	v_div_fixup_f32 v9, v24, v9, 1.0
.LBB4_27:
	s_or_b64 exec, exec, s[0:1]
	v_and_b32_e32 v10, 0xffff0000, v10
	v_cmp_o_f32_e32 vcc, v10, v10
	v_mov_b32_e32 v25, 0
	v_mov_b32_e32 v24, 0
	s_and_saveexec_b64 s[0:1], vcc
	s_cbranch_execz .LBB4_29
; %bb.28:
	v_mul_f32_e32 v24, 0xbfb8aa3b, v10
	s_mov_b32 s2, 0xbfb8aa3b
	v_rndne_f32_e32 v26, v24
	v_sub_f32_e32 v27, v24, v26
	v_fma_f32 v24, v10, s2, -v24
	v_fmac_f32_e32 v24, 0xb2a5705f, v10
	v_add_f32_e32 v24, v27, v24
	v_exp_f32_e32 v24, v24
	v_cvt_i32_f32_e32 v26, v26
	s_mov_b32 s2, 0x42ce8ed0
	v_cmp_nlt_f32_e32 vcc, s2, v10
	s_mov_b32 s2, 0xc2b17218
	v_ldexp_f32 v24, v24, v26
	v_cndmask_b32_e32 v24, 0, v24, vcc
	v_mov_b32_e32 v26, 0x7f800000
	v_cmp_ngt_f32_e32 vcc, s2, v10
	v_cndmask_b32_e32 v10, v26, v24, vcc
	v_add_f32_e32 v10, 1.0, v10
	v_div_scale_f32 v24, s[2:3], v10, v10, 1.0
	v_rcp_f32_e32 v26, v24
	v_fma_f32 v27, -v24, v26, 1.0
	v_fmac_f32_e32 v26, v27, v26
	v_div_scale_f32 v27, vcc, 1.0, v10, 1.0
	v_mul_f32_e32 v28, v27, v26
	v_fma_f32 v29, -v24, v28, v27
	v_fmac_f32_e32 v28, v29, v26
	v_fma_f32 v24, -v24, v28, v27
	v_div_fmas_f32 v24, v24, v26, v28
	v_div_fixup_f32 v24, v24, v10, 1.0
.LBB4_29:
	s_or_b64 exec, exec, s[0:1]
	v_lshlrev_b32_e32 v10, 16, v11
	v_cmp_o_f32_e32 vcc, v10, v10
	s_and_saveexec_b64 s[0:1], vcc
	s_cbranch_execz .LBB4_31
; %bb.30:
	v_mul_f32_e32 v25, 0xbfb8aa3b, v10
	s_mov_b32 s2, 0xbfb8aa3b
	v_rndne_f32_e32 v26, v25
	v_sub_f32_e32 v27, v25, v26
	v_fma_f32 v25, v10, s2, -v25
	v_fmac_f32_e32 v25, 0xb2a5705f, v10
	v_add_f32_e32 v25, v27, v25
	v_exp_f32_e32 v25, v25
	v_cvt_i32_f32_e32 v26, v26
	s_mov_b32 s2, 0x42ce8ed0
	v_cmp_nlt_f32_e32 vcc, s2, v10
	s_mov_b32 s2, 0xc2b17218
	v_ldexp_f32 v25, v25, v26
	v_cndmask_b32_e32 v25, 0, v25, vcc
	v_mov_b32_e32 v26, 0x7f800000
	v_cmp_ngt_f32_e32 vcc, s2, v10
	v_cndmask_b32_e32 v10, v26, v25, vcc
	v_add_f32_e32 v10, 1.0, v10
	v_div_scale_f32 v25, s[2:3], v10, v10, 1.0
	v_rcp_f32_e32 v26, v25
	v_fma_f32 v27, -v25, v26, 1.0
	v_fmac_f32_e32 v26, v27, v26
	v_div_scale_f32 v27, vcc, 1.0, v10, 1.0
	v_mul_f32_e32 v28, v27, v26
	v_fma_f32 v29, -v25, v28, v27
	v_fmac_f32_e32 v28, v29, v26
	v_fma_f32 v25, -v25, v28, v27
	v_div_fmas_f32 v25, v25, v26, v28
	v_div_fixup_f32 v25, v25, v10, 1.0
.LBB4_31:
	s_or_b64 exec, exec, s[0:1]
	v_and_b32_e32 v10, 0xffff0000, v11
	v_cmp_o_f32_e32 vcc, v10, v10
	v_mov_b32_e32 v38, 0
	s_and_saveexec_b64 s[0:1], vcc
	s_cbranch_execz .LBB4_33
; %bb.32:
	v_mul_f32_e32 v11, 0xbfb8aa3b, v10
	s_mov_b32 s2, 0xbfb8aa3b
	v_rndne_f32_e32 v26, v11
	v_sub_f32_e32 v27, v11, v26
	v_fma_f32 v11, v10, s2, -v11
	v_fmac_f32_e32 v11, 0xb2a5705f, v10
	v_add_f32_e32 v11, v27, v11
	v_exp_f32_e32 v11, v11
	v_cvt_i32_f32_e32 v26, v26
	s_mov_b32 s2, 0x42ce8ed0
	v_cmp_nlt_f32_e32 vcc, s2, v10
	s_mov_b32 s2, 0xc2b17218
	v_ldexp_f32 v11, v11, v26
	v_cndmask_b32_e32 v11, 0, v11, vcc
	v_mov_b32_e32 v26, 0x7f800000
	v_cmp_ngt_f32_e32 vcc, s2, v10
	v_cndmask_b32_e32 v10, v26, v11, vcc
	v_add_f32_e32 v10, 1.0, v10
	v_div_scale_f32 v11, s[2:3], v10, v10, 1.0
	v_rcp_f32_e32 v26, v11
	v_fma_f32 v27, -v11, v26, 1.0
	v_fmac_f32_e32 v26, v27, v26
	v_div_scale_f32 v27, vcc, 1.0, v10, 1.0
	v_mul_f32_e32 v28, v27, v26
	v_fma_f32 v29, -v11, v28, v27
	v_fmac_f32_e32 v28, v29, v26
	v_fma_f32 v11, -v11, v28, v27
	v_div_fmas_f32 v11, v11, v26, v28
	v_div_fixup_f32 v38, v11, v10, 1.0
.LBB4_33:
	s_or_b64 exec, exec, s[0:1]
	s_waitcnt vmcnt(0)
	v_lshlrev_b32_e32 v26, 16, v4
	v_and_b32_e32 v10, 0xffff0000, v4
	v_lshlrev_b32_e32 v11, 16, v5
	v_add_f32_e32 v39, v37, v26
	v_pk_add_f32 v[10:11], v[18:19], v[10:11]
	v_max_f32_e32 v26, 0xff7fffff, v39
	s_mov_b32 s2, 0xff7fffff
	v_cmp_ngt_f32_e32 vcc, v10, v26
	v_mov_b32_e32 v4, v26
	v_mov_b32_e32 v28, v10
	s_and_saveexec_b64 s[0:1], vcc
	s_cbranch_execz .LBB4_37
; %bb.34:
	v_cmp_lt_f32_e32 vcc, s2, v10
	v_mov_b32_e32 v4, 0xff7fffff
	s_and_saveexec_b64 s[2:3], vcc
; %bb.35:
	v_mov_b32_e32 v4, v10
; %bb.36:
	s_or_b64 exec, exec, s[2:3]
	v_mov_b32_e32 v28, v26
.LBB4_37:
	s_or_b64 exec, exec, s[0:1]
	v_cmp_ngt_f32_e32 vcc, v11, v28
	v_mov_b32_e32 v27, v28
	v_mov_b32_e32 v26, v11
	s_and_saveexec_b64 s[0:1], vcc
	s_cbranch_execz .LBB4_41
; %bb.38:
	v_cmp_gt_f32_e32 vcc, v11, v4
	s_and_saveexec_b64 s[2:3], vcc
; %bb.39:
	v_mov_b32_e32 v4, v11
; %bb.40:
	s_or_b64 exec, exec, s[2:3]
	v_mov_b32_e32 v27, v4
	v_mov_b32_e32 v26, v28
.LBB4_41:
	s_or_b64 exec, exec, s[0:1]
	v_and_b32_e32 v4, 0xffff0000, v5
	v_lshlrev_b32_e32 v5, 16, v6
	v_pk_add_f32 v[4:5], v[12:13], v[4:5]
	v_cmp_ngt_f32_e32 vcc, v4, v26
	v_mov_b32_e32 v31, v26
	v_mov_b32_e32 v30, v4
	s_and_saveexec_b64 s[0:1], vcc
	s_cbranch_execz .LBB4_45
; %bb.42:
	v_cmp_gt_f32_e32 vcc, v4, v27
	s_and_saveexec_b64 s[2:3], vcc
; %bb.43:
	v_mov_b32_e32 v27, v4
; %bb.44:
	s_or_b64 exec, exec, s[2:3]
	v_mov_b32_e32 v31, v27
	v_mov_b32_e32 v30, v26
.LBB4_45:
	s_or_b64 exec, exec, s[0:1]
	v_cmp_ngt_f32_e32 vcc, v5, v30
	v_mov_b32_e32 v29, v30
	v_mov_b32_e32 v28, v5
	s_and_saveexec_b64 s[0:1], vcc
	s_cbranch_execz .LBB4_49
; %bb.46:
	v_cmp_gt_f32_e32 vcc, v5, v31
	s_and_saveexec_b64 s[2:3], vcc
; %bb.47:
	v_mov_b32_e32 v31, v5
; %bb.48:
	s_or_b64 exec, exec, s[2:3]
	v_mov_b32_e32 v29, v31
	v_mov_b32_e32 v28, v30
.LBB4_49:
	s_or_b64 exec, exec, s[0:1]
	v_and_b32_e32 v26, 0xffff0000, v6
	v_lshlrev_b32_e32 v27, 16, v7
	v_pk_add_f32 v[26:27], v[20:21], v[26:27]
	v_cmp_ngt_f32_e32 vcc, v26, v28
	v_mov_b32_e32 v32, v28
	v_mov_b32_e32 v31, v26
	s_and_saveexec_b64 s[0:1], vcc
	s_cbranch_execz .LBB4_53
; %bb.50:
	v_cmp_gt_f32_e32 vcc, v26, v29
	s_and_saveexec_b64 s[2:3], vcc
; %bb.51:
	v_mov_b32_e32 v29, v26
; %bb.52:
	s_or_b64 exec, exec, s[2:3]
	v_mov_b32_e32 v32, v29
	v_mov_b32_e32 v31, v28
.LBB4_53:
	s_or_b64 exec, exec, s[0:1]
	v_cmp_ngt_f32_e32 vcc, v27, v31
	v_mov_b32_e32 v30, v31
	v_mov_b32_e32 v6, v27
	s_and_saveexec_b64 s[0:1], vcc
	s_cbranch_execz .LBB4_57
; %bb.54:
	v_cmp_gt_f32_e32 vcc, v27, v32
	s_and_saveexec_b64 s[2:3], vcc
; %bb.55:
	v_mov_b32_e32 v32, v27
; %bb.56:
	s_or_b64 exec, exec, s[2:3]
	v_mov_b32_e32 v30, v32
	v_mov_b32_e32 v6, v31
.LBB4_57:
	s_or_b64 exec, exec, s[0:1]
	v_and_b32_e32 v28, 0xffff0000, v7
	v_lshlrev_b32_e32 v29, 16, v0
	v_pk_add_f32 v[28:29], v[14:15], v[28:29]
	v_cmp_ngt_f32_e32 vcc, v28, v6
	v_mov_b32_e32 v32, v6
	v_mov_b32_e32 v31, v28
	s_and_saveexec_b64 s[0:1], vcc
	s_cbranch_execz .LBB4_61
; %bb.58:
	v_cmp_gt_f32_e32 vcc, v28, v30
	s_and_saveexec_b64 s[2:3], vcc
; %bb.59:
	v_mov_b32_e32 v30, v28
; %bb.60:
	s_or_b64 exec, exec, s[2:3]
	v_mov_b32_e32 v32, v30
	v_mov_b32_e32 v31, v6
.LBB4_61:
	s_or_b64 exec, exec, s[0:1]
	v_cmp_ngt_f32_e32 vcc, v29, v31
	v_mov_b32_e32 v7, v31
	v_mov_b32_e32 v6, v29
	s_and_saveexec_b64 s[0:1], vcc
	s_cbranch_execz .LBB4_65
; %bb.62:
	v_cmp_gt_f32_e32 vcc, v29, v32
	s_and_saveexec_b64 s[2:3], vcc
; %bb.63:
	v_mov_b32_e32 v32, v29
; %bb.64:
	s_or_b64 exec, exec, s[2:3]
	v_mov_b32_e32 v7, v32
	v_mov_b32_e32 v6, v31
.LBB4_65:
	s_or_b64 exec, exec, s[0:1]
	v_and_b32_e32 v30, 0xffff0000, v0
	v_lshlrev_b32_e32 v31, 16, v1
	v_pk_add_f32 v[30:31], v[22:23], v[30:31]
	v_cmp_ngt_f32_e32 vcc, v30, v6
	v_mov_b32_e32 v32, v6
	v_mov_b32_e32 v0, v30
	s_and_saveexec_b64 s[0:1], vcc
	s_cbranch_execz .LBB4_69
; %bb.66:
	v_cmp_gt_f32_e32 vcc, v30, v7
	s_and_saveexec_b64 s[2:3], vcc
; %bb.67:
	v_mov_b32_e32 v7, v30
; %bb.68:
	s_or_b64 exec, exec, s[2:3]
	v_mov_b32_e32 v32, v7
	v_mov_b32_e32 v0, v6
.LBB4_69:
	s_or_b64 exec, exec, s[0:1]
	v_cmp_ngt_f32_e32 vcc, v31, v0
	v_mov_b32_e32 v7, v0
	v_mov_b32_e32 v6, v31
	s_and_saveexec_b64 s[0:1], vcc
	s_cbranch_execz .LBB4_73
; %bb.70:
	v_cmp_gt_f32_e32 vcc, v31, v32
	s_and_saveexec_b64 s[2:3], vcc
; %bb.71:
	v_mov_b32_e32 v32, v31
; %bb.72:
	s_or_b64 exec, exec, s[2:3]
	v_mov_b32_e32 v7, v32
	v_mov_b32_e32 v6, v0
.LBB4_73:
	s_or_b64 exec, exec, s[0:1]
	v_and_b32_e32 v0, 0xffff0000, v1
	v_lshlrev_b32_e32 v1, 16, v2
	v_pk_add_f32 v[0:1], v[8:9], v[0:1]
	v_cmp_ngt_f32_e32 vcc, v0, v6
	v_mov_b32_e32 v33, v6
	v_mov_b32_e32 v32, v0
	s_and_saveexec_b64 s[0:1], vcc
	s_cbranch_execz .LBB4_77
; %bb.74:
	v_cmp_gt_f32_e32 vcc, v0, v7
	s_and_saveexec_b64 s[2:3], vcc
; %bb.75:
	v_mov_b32_e32 v7, v0
; %bb.76:
	s_or_b64 exec, exec, s[2:3]
	v_mov_b32_e32 v33, v7
	v_mov_b32_e32 v32, v6
.LBB4_77:
	s_or_b64 exec, exec, s[0:1]
	v_cmp_ngt_f32_e32 vcc, v1, v32
	v_mov_b32_e32 v7, v32
	v_mov_b32_e32 v6, v1
	s_and_saveexec_b64 s[0:1], vcc
	s_cbranch_execz .LBB4_81
; %bb.78:
	v_cmp_gt_f32_e32 vcc, v1, v33
	s_and_saveexec_b64 s[2:3], vcc
; %bb.79:
	v_mov_b32_e32 v33, v1
; %bb.80:
	s_or_b64 exec, exec, s[2:3]
	v_mov_b32_e32 v7, v33
	v_mov_b32_e32 v6, v32
.LBB4_81:
	s_or_b64 exec, exec, s[0:1]
	v_and_b32_e32 v32, 0xffff0000, v2
	v_lshlrev_b32_e32 v33, 16, v3
	v_pk_add_f32 v[32:33], v[24:25], v[32:33]
	v_cmp_ngt_f32_e32 vcc, v32, v6
	v_mov_b32_e32 v40, v6
	v_mov_b32_e32 v35, v32
	s_and_saveexec_b64 s[0:1], vcc
	s_cbranch_execz .LBB4_85
; %bb.82:
	v_cmp_gt_f32_e32 vcc, v32, v7
	s_and_saveexec_b64 s[2:3], vcc
; %bb.83:
	v_mov_b32_e32 v7, v32
; %bb.84:
	s_or_b64 exec, exec, s[2:3]
	v_mov_b32_e32 v40, v7
	v_mov_b32_e32 v35, v6
.LBB4_85:
	s_or_b64 exec, exec, s[0:1]
	v_cmp_ngt_f32_e32 vcc, v33, v35
	v_mov_b32_e32 v6, v35
	v_mov_b32_e32 v2, v33
	s_and_saveexec_b64 s[0:1], vcc
	s_cbranch_execz .LBB4_89
; %bb.86:
	v_cmp_gt_f32_e32 vcc, v33, v40
	s_and_saveexec_b64 s[2:3], vcc
; %bb.87:
	v_mov_b32_e32 v40, v33
; %bb.88:
	s_or_b64 exec, exec, s[2:3]
	v_mov_b32_e32 v6, v40
	v_mov_b32_e32 v2, v35
.LBB4_89:
	s_or_b64 exec, exec, s[0:1]
	v_and_b32_e32 v3, 0xffff0000, v3
	v_add_f32_e32 v41, v38, v3
	v_cmp_ngt_f32_e32 vcc, v41, v2
	v_mov_b32_e32 v3, v2
	v_mov_b32_e32 v7, v41
	s_and_saveexec_b64 s[0:1], vcc
	s_cbranch_execz .LBB4_93
; %bb.90:
	v_cmp_gt_f32_e32 vcc, v41, v6
	s_and_saveexec_b64 s[2:3], vcc
; %bb.91:
	v_mov_b32_e32 v6, v41
; %bb.92:
	s_or_b64 exec, exec, s[2:3]
	v_mov_b32_e32 v3, v6
	v_mov_b32_e32 v7, v2
.LBB4_93:
	s_or_b64 exec, exec, s[0:1]
	v_cmp_lt_i64_e64 s[0:1], s[46:47], 16
	v_lshlrev_b32_e32 v42, 4, v36
	s_and_b64 vcc, exec, s[0:1]
	s_cbranch_vccz .LBB4_96
; %bb.94:
	s_sub_u32 s6, 16, s46
	s_subb_u32 s7, 0, s47
	v_add_f32_e32 v2, v3, v7
	s_mov_b64 s[8:9], 0
	v_mov_b32_e32 v3, 0x7f7fffff
.LBB4_95:                               ; =>This Inner Loop Header: Depth=1
	v_mov_b32_dpp v6, v42 quad_perm:[1,0,3,2] row_mask:0xf bank_mask:0xf
	v_mov_b32_dpp v7, v2 quad_perm:[1,0,3,2] row_mask:0xf bank_mask:0xf
	v_cmp_eq_f32_e64 s[0:1], v2, v7
	v_cmp_lt_i32_e64 s[2:3], v42, v6
	v_cmp_lt_f32_e32 vcc, v2, v7
	s_and_b64 s[0:1], s[2:3], s[0:1]
	s_or_b64 vcc, vcc, s[0:1]
	v_cndmask_b32_e32 v7, v7, v2, vcc
	v_cndmask_b32_e32 v6, v6, v42, vcc
	s_nop 0
	v_mov_b32_dpp v40, v7 quad_perm:[2,3,0,1] row_mask:0xf bank_mask:0xf
	v_mov_b32_dpp v35, v6 quad_perm:[2,3,0,1] row_mask:0xf bank_mask:0xf
	v_cmp_eq_f32_e32 vcc, v7, v40
	v_cmp_lt_i32_e64 s[0:1], v6, v35
	s_and_b64 vcc, vcc, s[0:1]
	v_cmp_lt_f32_e64 s[0:1], v7, v40
	v_cndmask_b32_e32 v43, v40, v7, vcc
	s_or_b64 vcc, s[0:1], vcc
	v_cndmask_b32_e64 v7, v43, v7, s[0:1]
	v_cndmask_b32_e32 v6, v35, v6, vcc
	s_nop 0
	v_mov_b32_dpp v40, v7 row_half_mirror row_mask:0xf bank_mask:0xf
	v_mov_b32_dpp v35, v6 row_half_mirror row_mask:0xf bank_mask:0xf
	v_cmp_eq_f32_e32 vcc, v7, v40
	v_cmp_lt_i32_e64 s[0:1], v6, v35
	s_and_b64 vcc, vcc, s[0:1]
	v_cmp_lt_f32_e64 s[0:1], v7, v40
	v_cndmask_b32_e32 v43, v40, v7, vcc
	s_or_b64 vcc, s[0:1], vcc
	v_cndmask_b32_e64 v7, v43, v7, s[0:1]
	v_cndmask_b32_e32 v6, v35, v6, vcc
	s_add_u32 s8, s8, 1
	v_mov_b32_dpp v40, v7 row_mirror row_mask:0xf bank_mask:0xf
	v_mov_b32_dpp v35, v6 row_mirror row_mask:0xf bank_mask:0xf
	v_min_i32_e32 v43, v6, v35
	v_cmp_eq_f32_e32 vcc, v7, v40
	v_cndmask_b32_e32 v35, v35, v43, vcc
	v_cmp_lt_f32_e32 vcc, v7, v40
	v_cndmask_b32_e32 v6, v35, v6, vcc
	v_ashrrev_i32_e32 v7, 31, v6
	v_lshrrev_b32_e32 v7, 28, v7
	v_add_u32_e32 v6, v6, v7
	v_ashrrev_i32_e32 v6, 4, v6
	s_addc_u32 s9, s9, 0
	v_cmp_eq_u32_e32 vcc, v36, v6
	v_pk_mov_b32 v[6:7], s[8:9], s[8:9] op_sel:[0,1]
	v_cndmask_b32_e32 v39, v39, v3, vcc
	v_cndmask_b32_e32 v2, v2, v3, vcc
	v_cmp_le_i64_e32 vcc, s[6:7], v[6:7]
	s_cbranch_vccz .LBB4_95
.LBB4_96:
	s_sub_u32 s36, s48, s50
	s_subb_u32 s37, s49, s51
	s_mov_b64 s[0:1], src_shared_base
	s_cmp_lg_u32 0, -1
	s_cselect_b32 s0, s1, 0
	s_cselect_b32 s1, 0, 0
	s_add_u32 s1, s1, 0xff
	s_addc_u32 s0, s0, 0
	s_and_b32 s1, s1, 0xffffff00
	v_mov_b32_e32 v2, s1
	v_mov_b32_e32 v3, s0
	v_lshlrev_b32_e32 v34, 2, v34
	v_mad_u64_u32 v[6:7], s[0:1], v34, s48, v[2:3]
	s_load_dword s33, s[4:5], 0x48
	v_mov_b32_e32 v2, v7
	v_mad_u64_u32 v[2:3], s[0:1], v34, s49, v[2:3]
	v_cmp_lt_i64_e64 s[0:1], s[36:37], 1
	v_mov_b32_e32 v7, v2
	s_and_b64 vcc, exec, s[0:1]
	v_cmp_eq_u32_e64 s[0:1], 0, v36
	s_cbranch_vccnz .LBB4_107
; %bb.97:
	s_waitcnt lgkmcnt(0)
	v_mad_u64_u32 v[2:3], s[2:3], s33, v16, 0
	s_ashr_i32 s6, s33, 31
	v_mov_b32_e32 v34, v3
	v_mad_u64_u32 v[34:35], s[2:3], s6, v16, v[34:35]
	v_mov_b32_e32 v3, v34
	v_lshlrev_b64 v[2:3], 2, v[2:3]
	v_mov_b32_e32 v34, s43
	v_add_co_u32_e32 v2, vcc, s42, v2
	v_addc_co_u32_e32 v3, vcc, v34, v3, vcc
	v_mul_u32_u24_e32 v43, 16, v36
	s_mov_b64 s[38:39], 0
	v_mov_b32_e32 v40, 0
	s_mov_b32 s52, 0x7f7fffff
	v_mov_b32_e32 v44, 0xff7fffff
	v_pk_mov_b32 v[34:35], v[6:7], v[6:7] op_sel:[0,1]
	s_branch .LBB4_99
.LBB4_98:                               ;   in Loop: Header=BB4_99 Depth=1
	s_or_b64 exec, exec, s[2:3]
	v_add_co_u32_e32 v2, vcc, 4, v2
	s_add_u32 s38, s38, 1
	v_addc_co_u32_e32 v3, vcc, 0, v3, vcc
	s_addc_u32 s39, s39, 0
	v_add_co_u32_e32 v34, vcc, 4, v34
	v_addc_co_u32_e32 v35, vcc, 0, v35, vcc
	v_pk_mov_b32 v[46:47], s[38:39], s[38:39] op_sel:[0,1]
	v_cmp_le_i64_e32 vcc, s[36:37], v[46:47]
	s_cbranch_vccnz .LBB4_108
.LBB4_99:                               ; =>This Inner Loop Header: Depth=1
	v_cmp_neq_f32_e32 vcc, s52, v39
	v_mov_b32_e32 v45, 0xff7fffff
	v_mov_b32_e32 v46, v42
	s_and_saveexec_b64 s[2:3], vcc
	s_cbranch_execz .LBB4_101
; %bb.100:                              ;   in Loop: Header=BB4_99 Depth=1
	v_cmp_gt_f32_e32 vcc, v10, v39
	v_cndmask_b32_e32 v45, v39, v10, vcc
	v_cndmask_b32_e64 v46, 0, 1, vcc
	v_cmp_gt_f32_e32 vcc, v11, v45
	v_cndmask_b32_e32 v45, v45, v11, vcc
	v_cndmask_b32_e64 v46, v46, 2, vcc
	;; [unrolled: 3-line block ×14, first 2 shown]
	v_cmp_gt_f32_e32 vcc, v41, v45
	v_cndmask_b32_e64 v46, v46, 15, vcc
	v_cndmask_b32_e32 v45, v45, v41, vcc
	v_or_b32_e32 v46, v46, v42
.LBB4_101:                              ;   in Loop: Header=BB4_99 Depth=1
	s_or_b64 exec, exec, s[2:3]
	s_nop 0
	v_mov_b32_dpp v47, v46 quad_perm:[1,0,3,2] row_mask:0xf bank_mask:0xf
	v_mov_b32_dpp v48, v45 quad_perm:[1,0,3,2] row_mask:0xf bank_mask:0xf
	v_cmp_eq_f32_e64 s[2:3], v45, v48
	v_cmp_lt_i32_e64 s[6:7], v46, v47
	v_cmp_gt_f32_e32 vcc, v45, v48
	s_and_b64 s[2:3], s[2:3], s[6:7]
	s_or_b64 vcc, vcc, s[2:3]
	v_cndmask_b32_e32 v45, v48, v45, vcc
	v_cndmask_b32_e32 v46, v47, v46, vcc
	s_nop 0
	v_mov_b32_dpp v48, v45 quad_perm:[2,3,0,1] row_mask:0xf bank_mask:0xf
	v_mov_b32_dpp v47, v46 quad_perm:[2,3,0,1] row_mask:0xf bank_mask:0xf
	v_cmp_eq_f32_e32 vcc, v45, v48
	v_cmp_lt_i32_e64 s[2:3], v46, v47
	s_and_b64 vcc, vcc, s[2:3]
	v_cmp_gt_f32_e64 s[2:3], v45, v48
	v_cndmask_b32_e32 v49, v48, v45, vcc
	s_or_b64 vcc, s[2:3], vcc
	v_cndmask_b32_e64 v45, v49, v45, s[2:3]
	v_cndmask_b32_e32 v46, v47, v46, vcc
	s_nop 0
	v_mov_b32_dpp v48, v45 row_half_mirror row_mask:0xf bank_mask:0xf
	v_mov_b32_dpp v47, v46 row_half_mirror row_mask:0xf bank_mask:0xf
	v_cmp_eq_f32_e32 vcc, v45, v48
	v_cmp_lt_i32_e64 s[2:3], v46, v47
	s_and_b64 vcc, vcc, s[2:3]
	v_cmp_gt_f32_e64 s[2:3], v45, v48
	v_cndmask_b32_e32 v49, v48, v45, vcc
	s_or_b64 vcc, s[2:3], vcc
	v_cndmask_b32_e64 v45, v49, v45, s[2:3]
	v_cndmask_b32_e32 v46, v47, v46, vcc
	s_nop 0
	v_mov_b32_dpp v48, v45 row_mirror row_mask:0xf bank_mask:0xf
	v_mov_b32_dpp v47, v46 row_mirror row_mask:0xf bank_mask:0xf
	v_min_i32_e32 v49, v46, v47
	v_cmp_eq_f32_e32 vcc, v45, v48
	v_cndmask_b32_e32 v47, v47, v49, vcc
	v_cmp_gt_f32_e32 vcc, v45, v48
	v_cndmask_b32_e32 v45, v47, v46, vcc
	v_ashrrev_i32_e32 v46, 31, v45
	v_lshrrev_b32_e32 v46, 28, v46
	v_add_u32_e32 v46, v45, v46
	v_ashrrev_i32_e32 v46, 4, v46
	v_cmp_eq_u32_e32 vcc, v36, v46
	s_and_saveexec_b64 s[44:45], vcc
	s_cbranch_execz .LBB4_105
; %bb.102:                              ;   in Loop: Header=BB4_99 Depth=1
	v_sub_u32_e32 v46, v45, v43
	v_cmp_eq_u32_e64 s[28:29], 2, v46
	v_cmp_eq_u32_e64 s[30:31], 1, v46
	;; [unrolled: 1-line block ×14, first 2 shown]
	v_cmp_eq_u32_e32 vcc, 15, v46
	v_cmp_gt_u32_e64 s[34:35], 16, v46
	s_and_saveexec_b64 s[46:47], s[34:35]
	s_cbranch_execz .LBB4_104
; %bb.103:                              ;   in Loop: Header=BB4_99 Depth=1
	v_cndmask_b32_e64 v47, v37, v18, s[30:31]
	v_cndmask_b32_e64 v47, v47, v19, s[28:29]
	;; [unrolled: 1-line block ×14, first 2 shown]
	v_cndmask_b32_e32 v47, v47, v38, vcc
	flat_store_dword v[34:35], v47
.LBB4_104:                              ;   in Loop: Header=BB4_99 Depth=1
	s_or_b64 exec, exec, s[46:47]
	v_cmp_ne_u32_e64 s[34:35], 0, v46
	v_cndmask_b32_e64 v39, v44, v39, s[34:35]
	v_cndmask_b32_e64 v11, v11, v44, s[28:29]
	;; [unrolled: 1-line block ×15, first 2 shown]
	v_cndmask_b32_e32 v41, v41, v44, vcc
	global_store_dword v[2:3], v45, off
.LBB4_105:                              ;   in Loop: Header=BB4_99 Depth=1
	s_or_b64 exec, exec, s[44:45]
	s_waitcnt lgkmcnt(0)
	s_barrier
	s_and_saveexec_b64 s[2:3], s[0:1]
	s_cbranch_execz .LBB4_98
; %bb.106:                              ;   in Loop: Header=BB4_99 Depth=1
	flat_load_dword v45, v[34:35]
	s_waitcnt vmcnt(0) lgkmcnt(0)
	v_add_f32_e32 v40, v40, v45
	s_branch .LBB4_98
.LBB4_107:
	v_mov_b32_e32 v40, 0
.LBB4_108:
	v_cmp_eq_u32_e64 s[0:1], 0, v36
	v_cmp_gt_i64_e64 s[2:3], s[50:51], 0
	s_and_b64 s[6:7], s[0:1], s[2:3]
	s_and_saveexec_b64 s[2:3], s[6:7]
	s_cbranch_execz .LBB4_121
; %bb.109:
	v_cmp_le_u64_e32 vcc, s[50:51], v[16:17]
	v_pk_mov_b32 v[0:1], v[16:17], v[16:17] op_sel:[0,1]
	s_and_saveexec_b64 s[6:7], vcc
	s_cbranch_execz .LBB4_111
; %bb.110:
	v_cvt_f32_u32_e32 v0, s50
	s_sub_i32 s8, 0, s50
	v_rcp_iflag_f32_e32 v0, v0
	v_mul_f32_e32 v0, 0x4f7ffffe, v0
	v_cvt_u32_f32_e32 v0, v0
	v_mul_lo_u32 v1, s8, v0
	v_mul_hi_u32 v1, v0, v1
	v_add_u32_e32 v0, v0, v1
	v_mul_hi_u32 v0, v16, v0
	v_mul_lo_u32 v0, v0, s50
	v_sub_u32_e32 v0, v16, v0
	v_subrev_u32_e32 v1, s50, v0
	v_cmp_le_u32_e32 vcc, s50, v0
	v_cndmask_b32_e32 v0, v0, v1, vcc
	v_subrev_u32_e32 v1, s50, v0
	v_cmp_le_u32_e32 vcc, s50, v0
	v_cndmask_b32_e32 v0, v0, v1, vcc
	v_mov_b32_e32 v1, 0
.LBB4_111:
	s_or_b64 exec, exec, s[6:7]
	s_load_dwordx2 s[4:5], s[4:5], 0x40
	v_cvt_f64_f32_e32 v[8:9], v40
	v_pk_mov_b32 v[2:3], s[36:37], s[36:37] op_sel:[0,1]
	s_waitcnt lgkmcnt(0)
	v_mad_u64_u32 v[10:11], s[6:7], s33, v16, v[2:3]
	v_div_scale_f64 v[12:13], s[6:7], s[4:5], s[4:5], v[8:9]
	v_rcp_f64_e32 v[14:15], v[12:13]
	s_ashr_i32 s8, s33, 31
	v_mov_b32_e32 v2, v11
	v_mad_u64_u32 v[2:3], s[6:7], s8, v16, v[2:3]
	v_mov_b32_e32 v11, v2
	v_lshlrev_b64 v[2:3], 2, v[10:11]
	v_fma_f64 v[18:19], -v[12:13], v[14:15], 1.0
	v_mov_b32_e32 v5, s43
	v_add_co_u32_e32 v4, vcc, s42, v2
	v_fmac_f64_e32 v[14:15], v[14:15], v[18:19]
	v_addc_co_u32_e32 v5, vcc, v5, v3, vcc
	v_fma_f64 v[18:19], -v[12:13], v[14:15], 1.0
	v_fmac_f64_e32 v[14:15], v[14:15], v[18:19]
	v_div_scale_f64 v[18:19], vcc, v[8:9], s[4:5], v[8:9]
	v_mul_f64 v[20:21], v[18:19], v[14:15]
	v_fma_f64 v[12:13], -v[12:13], v[20:21], v[18:19]
	v_add_u32_e32 v17, 0x100, v0
	s_nop 0
	v_div_fmas_f64 v[12:13], v[12:13], v[14:15], v[20:21]
	v_div_fixup_f64 v[8:9], v[12:13], s[4:5], v[8:9]
	v_cvt_f32_f64_e32 v8, v[8:9]
	v_mov_b32_e32 v9, s41
	v_add_co_u32_e32 v14, vcc, s40, v2
	v_addc_co_u32_e32 v15, vcc, v9, v3, vcc
	v_cmp_lt_u64_e64 s[4:5], s[50:51], 2
	s_and_b64 vcc, exec, s[4:5]
	global_store_dword v[4:5], v17, off
	global_store_dword v[14:15], v8, off
	s_cbranch_vccnz .LBB4_121
; %bb.112:
	s_cmp_eq_u64 s[50:51], 2
	s_cbranch_scc1 .LBB4_117
; %bb.113:
	v_add_co_u32_e32 v2, vcc, 1, v0
	v_addc_co_u32_e32 v3, vcc, 0, v1, vcc
	s_add_u32 s4, s50, -1
	v_add_co_u32_e32 v12, vcc, 4, v4
	s_addc_u32 s5, s51, -1
	v_addc_co_u32_e32 v13, vcc, 0, v5, vcc
	s_and_b32 s6, s4, -2
	s_mov_b32 s7, s5
	v_add_co_u32_e32 v14, vcc, 4, v14
	v_pk_mov_b32 v[4:5], v[2:3], v[2:3] op_sel:[0,1]
	v_mov_b32_e32 v9, v8
	v_addc_co_u32_e32 v15, vcc, 0, v15, vcc
	s_mov_b64 s[8:9], s[6:7]
	v_pk_mov_b32 v[2:3], v[0:1], v[0:1] op_sel:[0,1]
.LBB4_114:                              ; =>This Inner Loop Header: Depth=1
	v_add_u32_e32 v19, 0x101, v4
	v_add_co_u32_e32 v4, vcc, 2, v4
	v_addc_co_u32_e32 v5, vcc, 0, v5, vcc
	v_add_u32_e32 v18, 0x101, v2
	v_add_co_u32_e32 v2, vcc, 2, v2
	v_addc_co_u32_e32 v3, vcc, 0, v3, vcc
	global_store_dwordx2 v[14:15], v[8:9], off
	v_add_co_u32_e32 v14, vcc, 8, v14
	v_addc_co_u32_e32 v15, vcc, 0, v15, vcc
	s_add_u32 s8, s8, -2
	global_store_dwordx2 v[12:13], v[18:19], off
	s_addc_u32 s9, s9, -1
	v_add_co_u32_e32 v12, vcc, 8, v12
	s_cmp_lg_u64 s[8:9], 0
	v_addc_co_u32_e32 v13, vcc, 0, v13, vcc
	s_cbranch_scc1 .LBB4_114
; %bb.115:
	s_cmp_eq_u64 s[4:5], s[6:7]
	s_cbranch_scc1 .LBB4_118
; %bb.116:
	v_mov_b32_e32 v1, s7
	v_add_co_u32_e32 v10, vcc, s6, v10
	s_or_b32 s4, s4, 1
	v_add_u32_e32 v0, s6, v0
	v_addc_co_u32_e32 v11, vcc, v11, v1, vcc
	s_cbranch_execnz .LBB4_119
	s_branch .LBB4_121
.LBB4_117:
	s_mov_b32 s4, 1
	s_cbranch_execnz .LBB4_119
	s_branch .LBB4_121
.LBB4_118:
	s_mov_b32 s4, 1
                                        ; implicit-def: $vgpr10_vgpr11
                                        ; implicit-def: $vgpr0
	s_branch .LBB4_121
.LBB4_119:
	v_add_u32_e32 v9, 0x101, v0
	v_lshlrev_b64 v[0:1], 2, v[10:11]
	v_add_co_u32_e32 v2, vcc, 4, v0
	v_addc_co_u32_e32 v3, vcc, 0, v1, vcc
	v_mov_b32_e32 v1, s41
	v_add_co_u32_e32 v0, vcc, s40, v2
	v_addc_co_u32_e32 v1, vcc, v1, v3, vcc
	v_mov_b32_e32 v4, s43
	v_add_co_u32_e32 v2, vcc, s42, v2
	s_mov_b32 s5, 0
	v_addc_co_u32_e32 v3, vcc, v4, v3, vcc
	v_pk_mov_b32 v[4:5], s[50:51], s[50:51] op_sel:[0,1]
.LBB4_120:                              ; =>This Inner Loop Header: Depth=1
	global_store_dword v[2:3], v9, off
	global_store_dword v[0:1], v8, off
	v_add_co_u32_e32 v0, vcc, 4, v0
	v_addc_co_u32_e32 v1, vcc, 0, v1, vcc
	s_add_u32 s4, s4, 1
	v_add_co_u32_e32 v2, vcc, 4, v2
	v_addc_co_u32_e32 v3, vcc, 0, v3, vcc
	s_addc_u32 s5, s5, 0
	v_cmp_lt_u64_e32 vcc, s[4:5], v[4:5]
	v_add_u32_e32 v9, 1, v9
	s_cbranch_vccnz .LBB4_120
.LBB4_121:
	s_or_b64 exec, exec, s[2:3]
	v_cmp_gt_i64_e64 s[4:5], s[48:49], 0
	s_mov_b64 s[2:3], 0
	s_and_b64 s[0:1], s[0:1], s[4:5]
	s_waitcnt lgkmcnt(0)
	s_barrier
	s_and_b64 exec, exec, s[0:1]
	s_cbranch_execz .LBB4_128
; %bb.122:
	v_mad_u64_u32 v[0:1], s[0:1], s33, v16, 0
	s_ashr_i32 s4, s33, 31
	v_mov_b32_e32 v2, v1
	v_mad_u64_u32 v[2:3], s[0:1], s4, v16, v[2:3]
	v_mov_b32_e32 v1, v2
	v_lshlrev_b64 v[0:1], 2, v[0:1]
	v_mov_b32_e32 v2, s41
	v_add_co_u32_e32 v4, vcc, s40, v0
	v_addc_co_u32_e32 v5, vcc, v2, v1, vcc
	v_cmp_lt_u64_e64 s[0:1], s[48:49], 8
	s_and_b64 vcc, exec, s[0:1]
	s_cbranch_vccnz .LBB4_125
; %bb.123:
	s_and_b32 s3, s49, 0x7fffffff
	s_and_b32 s2, s48, -8
	s_mov_b64 s[0:1], 0
	s_mov_b64 s[4:5], s[2:3]
.LBB4_124:                              ; =>This Inner Loop Header: Depth=1
	v_mov_b32_e32 v1, s1
	v_add_co_u32_e32 v2, vcc, s0, v6
	v_addc_co_u32_e32 v3, vcc, v7, v1, vcc
	flat_load_dword v8, v[2:3]
	v_add_co_u32_e32 v0, vcc, s0, v4
	v_addc_co_u32_e32 v1, vcc, v5, v1, vcc
	s_add_u32 s0, s0, 32
	s_addc_u32 s1, s1, 0
	s_add_u32 s4, s4, -8
	s_addc_u32 s5, s5, -1
	s_cmp_lg_u64 s[4:5], 0
	s_waitcnt vmcnt(0) lgkmcnt(0)
	v_div_scale_f32 v9, s[6:7], v40, v40, v8
	v_rcp_f32_e32 v11, v9
	v_div_scale_f32 v10, vcc, v8, v40, v8
	v_fma_f32 v12, -v9, v11, 1.0
	v_fmac_f32_e32 v11, v12, v11
	v_mul_f32_e32 v12, v10, v11
	v_fma_f32 v13, -v9, v12, v10
	v_fmac_f32_e32 v12, v13, v11
	v_fma_f32 v9, -v9, v12, v10
	v_div_fmas_f32 v9, v9, v11, v12
	v_div_fixup_f32 v8, v9, v40, v8
	global_store_dword v[0:1], v8, off
	flat_load_dword v8, v[2:3] offset:4
	s_waitcnt vmcnt(0) lgkmcnt(0)
	v_div_scale_f32 v9, s[6:7], v40, v40, v8
	v_rcp_f32_e32 v11, v9
	v_div_scale_f32 v10, vcc, v8, v40, v8
	v_fma_f32 v12, -v9, v11, 1.0
	v_fmac_f32_e32 v11, v12, v11
	v_mul_f32_e32 v12, v10, v11
	v_fma_f32 v13, -v9, v12, v10
	v_fmac_f32_e32 v12, v13, v11
	v_fma_f32 v9, -v9, v12, v10
	v_div_fmas_f32 v9, v9, v11, v12
	v_div_fixup_f32 v8, v9, v40, v8
	global_store_dword v[0:1], v8, off offset:4
	flat_load_dword v8, v[2:3] offset:8
	s_waitcnt vmcnt(0) lgkmcnt(0)
	v_div_scale_f32 v9, s[6:7], v40, v40, v8
	v_rcp_f32_e32 v11, v9
	v_div_scale_f32 v10, vcc, v8, v40, v8
	v_fma_f32 v12, -v9, v11, 1.0
	v_fmac_f32_e32 v11, v12, v11
	v_mul_f32_e32 v12, v10, v11
	v_fma_f32 v13, -v9, v12, v10
	v_fmac_f32_e32 v12, v13, v11
	v_fma_f32 v9, -v9, v12, v10
	v_div_fmas_f32 v9, v9, v11, v12
	v_div_fixup_f32 v8, v9, v40, v8
	global_store_dword v[0:1], v8, off offset:8
	;; [unrolled: 14-line block ×7, first 2 shown]
	s_cbranch_scc1 .LBB4_124
.LBB4_125:
	s_and_b32 s0, s48, 7
	s_mov_b32 s1, 0
	s_cmp_eq_u64 s[0:1], 0
	s_cbranch_scc1 .LBB4_128
; %bb.126:
	s_mov_b64 s[4:5], s[0:1]
.LBB4_127:                              ; =>This Inner Loop Header: Depth=1
	s_lshl_b64 s[6:7], s[2:3], 2
	v_mov_b32_e32 v2, s7
	v_add_co_u32_e32 v0, vcc, s6, v6
	v_addc_co_u32_e32 v1, vcc, v7, v2, vcc
	flat_load_dword v3, v[0:1]
	v_add_co_u32_e32 v0, vcc, s6, v4
	v_addc_co_u32_e32 v1, vcc, v5, v2, vcc
	s_add_i32 s0, s2, 1
	s_add_u32 s4, s4, -1
	s_addc_u32 s5, s5, -1
	s_mov_b64 s[2:3], s[0:1]
	s_cmp_lg_u64 s[4:5], 0
	s_waitcnt vmcnt(0) lgkmcnt(0)
	v_div_scale_f32 v2, s[6:7], v40, v40, v3
	v_rcp_f32_e32 v8, v2
	v_div_scale_f32 v9, vcc, v3, v40, v3
	v_fma_f32 v10, -v2, v8, 1.0
	v_fmac_f32_e32 v8, v10, v8
	v_mul_f32_e32 v10, v9, v8
	v_fma_f32 v11, -v2, v10, v9
	v_fmac_f32_e32 v10, v11, v8
	v_fma_f32 v2, -v2, v10, v9
	v_div_fmas_f32 v2, v2, v8, v10
	v_div_fixup_f32 v2, v2, v40, v3
	global_store_dword v[0:1], v2, off
	s_cbranch_scc1 .LBB4_127
.LBB4_128:
	s_endpgm
	.section	.rodata,"a",@progbits
	.p2align	6, 0x0
	.amdhsa_kernel _Z21moe_fused_gate_kernelItLi16ELi256ELi16ELi1EEvPvS0_PfPilllldi
		.amdhsa_group_segment_fixed_size 0
		.amdhsa_private_segment_fixed_size 0
		.amdhsa_kernarg_size 76
		.amdhsa_user_sgpr_count 6
		.amdhsa_user_sgpr_private_segment_buffer 1
		.amdhsa_user_sgpr_dispatch_ptr 0
		.amdhsa_user_sgpr_queue_ptr 0
		.amdhsa_user_sgpr_kernarg_segment_ptr 1
		.amdhsa_user_sgpr_dispatch_id 0
		.amdhsa_user_sgpr_flat_scratch_init 0
		.amdhsa_user_sgpr_kernarg_preload_length 0
		.amdhsa_user_sgpr_kernarg_preload_offset 0
		.amdhsa_user_sgpr_private_segment_size 0
		.amdhsa_uses_dynamic_stack 0
		.amdhsa_system_sgpr_private_segment_wavefront_offset 0
		.amdhsa_system_sgpr_workgroup_id_x 1
		.amdhsa_system_sgpr_workgroup_id_y 0
		.amdhsa_system_sgpr_workgroup_id_z 0
		.amdhsa_system_sgpr_workgroup_info 0
		.amdhsa_system_vgpr_workitem_id 1
		.amdhsa_next_free_vgpr 50
		.amdhsa_next_free_sgpr 53
		.amdhsa_accum_offset 52
		.amdhsa_reserve_vcc 1
		.amdhsa_reserve_flat_scratch 0
		.amdhsa_float_round_mode_32 0
		.amdhsa_float_round_mode_16_64 0
		.amdhsa_float_denorm_mode_32 3
		.amdhsa_float_denorm_mode_16_64 3
		.amdhsa_dx10_clamp 1
		.amdhsa_ieee_mode 1
		.amdhsa_fp16_overflow 0
		.amdhsa_tg_split 0
		.amdhsa_exception_fp_ieee_invalid_op 0
		.amdhsa_exception_fp_denorm_src 0
		.amdhsa_exception_fp_ieee_div_zero 0
		.amdhsa_exception_fp_ieee_overflow 0
		.amdhsa_exception_fp_ieee_underflow 0
		.amdhsa_exception_fp_ieee_inexact 0
		.amdhsa_exception_int_div_zero 0
	.end_amdhsa_kernel
	.section	.text._Z21moe_fused_gate_kernelItLi16ELi256ELi16ELi1EEvPvS0_PfPilllldi,"axG",@progbits,_Z21moe_fused_gate_kernelItLi16ELi256ELi16ELi1EEvPvS0_PfPilllldi,comdat
.Lfunc_end4:
	.size	_Z21moe_fused_gate_kernelItLi16ELi256ELi16ELi1EEvPvS0_PfPilllldi, .Lfunc_end4-_Z21moe_fused_gate_kernelItLi16ELi256ELi16ELi1EEvPvS0_PfPilllldi
                                        ; -- End function
	.section	.AMDGPU.csdata,"",@progbits
; Kernel info:
; codeLenInByte = 7536
; NumSgprs: 57
; NumVgprs: 50
; NumAgprs: 0
; TotalNumVgprs: 50
; ScratchSize: 0
; MemoryBound: 0
; FloatMode: 240
; IeeeMode: 1
; LDSByteSize: 0 bytes/workgroup (compile time only)
; SGPRBlocks: 7
; VGPRBlocks: 6
; NumSGPRsForWavesPerEU: 57
; NumVGPRsForWavesPerEU: 50
; AccumOffset: 52
; Occupancy: 8
; WaveLimiterHint : 0
; COMPUTE_PGM_RSRC2:SCRATCH_EN: 0
; COMPUTE_PGM_RSRC2:USER_SGPR: 6
; COMPUTE_PGM_RSRC2:TRAP_HANDLER: 0
; COMPUTE_PGM_RSRC2:TGID_X_EN: 1
; COMPUTE_PGM_RSRC2:TGID_Y_EN: 0
; COMPUTE_PGM_RSRC2:TGID_Z_EN: 0
; COMPUTE_PGM_RSRC2:TIDIG_COMP_CNT: 1
; COMPUTE_PGM_RSRC3_GFX90A:ACCUM_OFFSET: 12
; COMPUTE_PGM_RSRC3_GFX90A:TG_SPLIT: 0
	.section	.text._Z21moe_fused_gate_kernelIDF16_Li16ELi256ELi16ELi1EEvPvS0_PfPilllldi,"axG",@progbits,_Z21moe_fused_gate_kernelIDF16_Li16ELi256ELi16ELi1EEvPvS0_PfPilllldi,comdat
	.protected	_Z21moe_fused_gate_kernelIDF16_Li16ELi256ELi16ELi1EEvPvS0_PfPilllldi ; -- Begin function _Z21moe_fused_gate_kernelIDF16_Li16ELi256ELi16ELi1EEvPvS0_PfPilllldi
	.globl	_Z21moe_fused_gate_kernelIDF16_Li16ELi256ELi16ELi1EEvPvS0_PfPilllldi
	.p2align	8
	.type	_Z21moe_fused_gate_kernelIDF16_Li16ELi256ELi16ELi1EEvPvS0_PfPilllldi,@function
_Z21moe_fused_gate_kernelIDF16_Li16ELi256ELi16ELi1EEvPvS0_PfPilllldi: ; @_Z21moe_fused_gate_kernelIDF16_Li16ELi256ELi16ELi1EEvPvS0_PfPilllldi
; %bb.0:
	s_load_dwordx16 s[36:51], s[4:5], 0x0
	v_and_b32_e32 v1, 0x3ff, v0
	v_bfe_u32 v0, v0, 10, 10
	v_add_u32_e32 v0, s6, v0
	v_lshrrev_b32_e32 v32, 4, v1
	v_mov_b32_e32 v37, 0
	v_lshl_add_u32 v16, v0, 2, v32
	v_mov_b32_e32 v17, v37
	s_waitcnt lgkmcnt(0)
	v_cmp_gt_i64_e32 vcc, s[44:45], v[16:17]
	s_and_saveexec_b64 s[0:1], vcc
	s_cbranch_execz .LBB5_128
; %bb.1:
	v_lshlrev_b64 v[2:3], 9, v[16:17]
	v_mov_b32_e32 v0, s37
	v_add_co_u32_e32 v2, vcc, s36, v2
	v_and_b32_e32 v36, 15, v1
	v_addc_co_u32_e32 v0, vcc, v0, v3, vcc
	v_lshlrev_b32_e32 v20, 5, v36
	v_add_co_u32_e32 v18, vcc, v2, v20
	v_addc_co_u32_e32 v19, vcc, 0, v0, vcc
	global_load_dwordx4 v[8:11], v[18:19], off offset:16
	global_load_dwordx4 v[12:15], v[18:19], off
	global_load_dwordx4 v[0:3], v20, s[38:39] offset:16
	global_load_dwordx4 v[4:7], v20, s[38:39]
	s_waitcnt vmcnt(2)
	v_cmp_o_f16_e32 vcc, v12, v12
	s_and_saveexec_b64 s[0:1], vcc
	s_cbranch_execz .LBB5_3
; %bb.2:
	v_cvt_f32_f16_e64 v18, -v12
	s_mov_b32 s2, 0x3fb8aa3b
	s_mov_b32 s3, 0x32a5705f
	v_mul_f32_e32 v19, 0x3fb8aa3b, v18
	v_rndne_f32_e32 v20, v19
	v_fma_mix_f32 v21, -v12, s2, -v19 op_sel_hi:[1,0,0]
	v_sub_f32_e32 v19, v19, v20
	v_fma_mix_f32 v21, -v12, s3, v21 op_sel_hi:[1,0,0]
	v_add_f32_e32 v19, v19, v21
	v_cvt_i32_f32_e32 v20, v20
	v_exp_f32_e32 v19, v19
	s_mov_b32 s2, 0xc2ce8ed0
	v_cmp_ngt_f32_e32 vcc, s2, v18
	s_mov_b32 s2, 0x42b17218
	v_ldexp_f32 v19, v19, v20
	v_cndmask_b32_e32 v19, 0, v19, vcc
	v_mov_b32_e32 v20, 0x7f800000
	v_cmp_nlt_f32_e32 vcc, s2, v18
	v_cndmask_b32_e32 v18, v20, v19, vcc
	v_add_f32_e32 v18, 1.0, v18
	v_div_scale_f32 v19, s[2:3], v18, v18, 1.0
	v_rcp_f32_e32 v20, v19
	v_fma_f32 v21, -v19, v20, 1.0
	v_fmac_f32_e32 v20, v21, v20
	v_div_scale_f32 v21, vcc, 1.0, v18, 1.0
	v_mul_f32_e32 v22, v21, v20
	v_fma_f32 v23, -v19, v22, v21
	v_fmac_f32_e32 v22, v23, v20
	v_fma_f32 v19, -v19, v22, v21
	v_div_fmas_f32 v19, v19, v20, v22
	v_div_fixup_f32 v37, v19, v18, 1.0
.LBB5_3:
	s_or_b64 exec, exec, s[0:1]
	v_lshrrev_b32_e32 v18, 16, v12
	v_cmp_o_f16_e32 vcc, v18, v18
	v_mov_b32_e32 v12, 0
	v_mov_b32_e32 v38, 0
	s_and_saveexec_b64 s[0:1], vcc
	s_cbranch_execz .LBB5_5
; %bb.4:
	v_cvt_f32_f16_e64 v19, -v18
	s_mov_b32 s2, 0x3fb8aa3b
	s_mov_b32 s3, 0x32a5705f
	v_mul_f32_e32 v20, 0x3fb8aa3b, v19
	v_rndne_f32_e32 v21, v20
	v_fma_mix_f32 v22, -v18, s2, -v20 op_sel_hi:[1,0,0]
	v_sub_f32_e32 v20, v20, v21
	v_fma_mix_f32 v18, -v18, s3, v22 op_sel_hi:[1,0,0]
	v_add_f32_e32 v18, v20, v18
	v_cvt_i32_f32_e32 v20, v21
	v_exp_f32_e32 v18, v18
	s_mov_b32 s2, 0xc2ce8ed0
	v_cmp_ngt_f32_e32 vcc, s2, v19
	s_mov_b32 s2, 0x42b17218
	v_ldexp_f32 v18, v18, v20
	v_cndmask_b32_e32 v18, 0, v18, vcc
	v_mov_b32_e32 v20, 0x7f800000
	v_cmp_nlt_f32_e32 vcc, s2, v19
	v_cndmask_b32_e32 v18, v20, v18, vcc
	v_add_f32_e32 v18, 1.0, v18
	v_div_scale_f32 v19, s[2:3], v18, v18, 1.0
	v_rcp_f32_e32 v20, v19
	v_fma_f32 v21, -v19, v20, 1.0
	v_fmac_f32_e32 v20, v21, v20
	v_div_scale_f32 v21, vcc, 1.0, v18, 1.0
	v_mul_f32_e32 v22, v21, v20
	v_fma_f32 v23, -v19, v22, v21
	v_fmac_f32_e32 v22, v23, v20
	v_fma_f32 v19, -v19, v22, v21
	v_div_fmas_f32 v19, v19, v20, v22
	v_div_fixup_f32 v38, v19, v18, 1.0
.LBB5_5:
	s_or_b64 exec, exec, s[0:1]
	v_cmp_o_f16_e32 vcc, v13, v13
	s_and_saveexec_b64 s[0:1], vcc
	s_cbranch_execz .LBB5_7
; %bb.6:
	v_cvt_f32_f16_e64 v12, -v13
	s_mov_b32 s2, 0x3fb8aa3b
	s_mov_b32 s3, 0x32a5705f
	v_mul_f32_e32 v18, 0x3fb8aa3b, v12
	v_rndne_f32_e32 v19, v18
	v_fma_mix_f32 v20, -v13, s2, -v18 op_sel_hi:[1,0,0]
	v_sub_f32_e32 v18, v18, v19
	v_fma_mix_f32 v20, -v13, s3, v20 op_sel_hi:[1,0,0]
	v_add_f32_e32 v18, v18, v20
	v_cvt_i32_f32_e32 v19, v19
	v_exp_f32_e32 v18, v18
	s_mov_b32 s2, 0xc2ce8ed0
	v_cmp_ngt_f32_e32 vcc, s2, v12
	s_mov_b32 s2, 0x42b17218
	v_ldexp_f32 v18, v18, v19
	v_cndmask_b32_e32 v18, 0, v18, vcc
	v_mov_b32_e32 v19, 0x7f800000
	v_cmp_nlt_f32_e32 vcc, s2, v12
	v_cndmask_b32_e32 v12, v19, v18, vcc
	v_add_f32_e32 v12, 1.0, v12
	v_div_scale_f32 v18, s[2:3], v12, v12, 1.0
	v_rcp_f32_e32 v19, v18
	v_fma_f32 v20, -v18, v19, 1.0
	v_fmac_f32_e32 v19, v20, v19
	v_div_scale_f32 v20, vcc, 1.0, v12, 1.0
	v_mul_f32_e32 v21, v20, v19
	v_fma_f32 v22, -v18, v21, v20
	v_fmac_f32_e32 v21, v22, v19
	v_fma_f32 v18, -v18, v21, v20
	v_div_fmas_f32 v18, v18, v19, v21
	v_div_fixup_f32 v12, v18, v12, 1.0
.LBB5_7:
	s_or_b64 exec, exec, s[0:1]
	v_lshrrev_b32_e32 v19, 16, v13
	v_cmp_o_f16_e32 vcc, v19, v19
	v_mov_b32_e32 v18, 0
	v_mov_b32_e32 v13, 0
	s_and_saveexec_b64 s[0:1], vcc
	s_cbranch_execz .LBB5_9
; %bb.8:
	v_cvt_f32_f16_e64 v13, -v19
	s_mov_b32 s2, 0x3fb8aa3b
	s_mov_b32 s3, 0x32a5705f
	v_mul_f32_e32 v20, 0x3fb8aa3b, v13
	v_rndne_f32_e32 v21, v20
	v_fma_mix_f32 v22, -v19, s2, -v20 op_sel_hi:[1,0,0]
	v_sub_f32_e32 v20, v20, v21
	v_fma_mix_f32 v19, -v19, s3, v22 op_sel_hi:[1,0,0]
	v_add_f32_e32 v19, v20, v19
	v_cvt_i32_f32_e32 v20, v21
	v_exp_f32_e32 v19, v19
	s_mov_b32 s2, 0xc2ce8ed0
	v_cmp_ngt_f32_e32 vcc, s2, v13
	s_mov_b32 s2, 0x42b17218
	v_ldexp_f32 v19, v19, v20
	v_cndmask_b32_e32 v19, 0, v19, vcc
	v_mov_b32_e32 v20, 0x7f800000
	v_cmp_nlt_f32_e32 vcc, s2, v13
	v_cndmask_b32_e32 v13, v20, v19, vcc
	v_add_f32_e32 v13, 1.0, v13
	v_div_scale_f32 v19, s[2:3], v13, v13, 1.0
	v_rcp_f32_e32 v20, v19
	v_fma_f32 v21, -v19, v20, 1.0
	v_fmac_f32_e32 v20, v21, v20
	v_div_scale_f32 v21, vcc, 1.0, v13, 1.0
	v_mul_f32_e32 v22, v21, v20
	v_fma_f32 v23, -v19, v22, v21
	v_fmac_f32_e32 v22, v23, v20
	v_fma_f32 v19, -v19, v22, v21
	v_div_fmas_f32 v19, v19, v20, v22
	v_div_fixup_f32 v13, v19, v13, 1.0
.LBB5_9:
	s_or_b64 exec, exec, s[0:1]
	v_cmp_o_f16_e32 vcc, v14, v14
	s_and_saveexec_b64 s[0:1], vcc
	s_cbranch_execz .LBB5_11
; %bb.10:
	v_cvt_f32_f16_e64 v18, -v14
	s_mov_b32 s2, 0x3fb8aa3b
	s_mov_b32 s3, 0x32a5705f
	v_mul_f32_e32 v19, 0x3fb8aa3b, v18
	v_rndne_f32_e32 v20, v19
	v_fma_mix_f32 v21, -v14, s2, -v19 op_sel_hi:[1,0,0]
	v_sub_f32_e32 v19, v19, v20
	v_fma_mix_f32 v21, -v14, s3, v21 op_sel_hi:[1,0,0]
	v_add_f32_e32 v19, v19, v21
	v_cvt_i32_f32_e32 v20, v20
	v_exp_f32_e32 v19, v19
	s_mov_b32 s2, 0xc2ce8ed0
	v_cmp_ngt_f32_e32 vcc, s2, v18
	s_mov_b32 s2, 0x42b17218
	v_ldexp_f32 v19, v19, v20
	v_cndmask_b32_e32 v19, 0, v19, vcc
	v_mov_b32_e32 v20, 0x7f800000
	v_cmp_nlt_f32_e32 vcc, s2, v18
	v_cndmask_b32_e32 v18, v20, v19, vcc
	v_add_f32_e32 v18, 1.0, v18
	v_div_scale_f32 v19, s[2:3], v18, v18, 1.0
	v_rcp_f32_e32 v20, v19
	v_fma_f32 v21, -v19, v20, 1.0
	v_fmac_f32_e32 v20, v21, v20
	v_div_scale_f32 v21, vcc, 1.0, v18, 1.0
	v_mul_f32_e32 v22, v21, v20
	v_fma_f32 v23, -v19, v22, v21
	v_fmac_f32_e32 v22, v23, v20
	v_fma_f32 v19, -v19, v22, v21
	v_div_fmas_f32 v19, v19, v20, v22
	v_div_fixup_f32 v18, v19, v18, 1.0
.LBB5_11:
	s_or_b64 exec, exec, s[0:1]
	v_lshrrev_b32_e32 v20, 16, v14
	v_cmp_o_f16_e32 vcc, v20, v20
	v_mov_b32_e32 v14, 0
	v_mov_b32_e32 v19, 0
	s_and_saveexec_b64 s[0:1], vcc
	s_cbranch_execz .LBB5_13
; %bb.12:
	v_cvt_f32_f16_e64 v19, -v20
	s_mov_b32 s2, 0x3fb8aa3b
	s_mov_b32 s3, 0x32a5705f
	v_mul_f32_e32 v21, 0x3fb8aa3b, v19
	v_rndne_f32_e32 v22, v21
	v_fma_mix_f32 v23, -v20, s2, -v21 op_sel_hi:[1,0,0]
	v_sub_f32_e32 v21, v21, v22
	v_fma_mix_f32 v20, -v20, s3, v23 op_sel_hi:[1,0,0]
	v_add_f32_e32 v20, v21, v20
	v_cvt_i32_f32_e32 v21, v22
	v_exp_f32_e32 v20, v20
	s_mov_b32 s2, 0xc2ce8ed0
	v_cmp_ngt_f32_e32 vcc, s2, v19
	s_mov_b32 s2, 0x42b17218
	v_ldexp_f32 v20, v20, v21
	v_cndmask_b32_e32 v20, 0, v20, vcc
	v_mov_b32_e32 v21, 0x7f800000
	v_cmp_nlt_f32_e32 vcc, s2, v19
	v_cndmask_b32_e32 v19, v21, v20, vcc
	v_add_f32_e32 v19, 1.0, v19
	v_div_scale_f32 v20, s[2:3], v19, v19, 1.0
	v_rcp_f32_e32 v21, v20
	v_fma_f32 v22, -v20, v21, 1.0
	v_fmac_f32_e32 v21, v22, v21
	v_div_scale_f32 v22, vcc, 1.0, v19, 1.0
	v_mul_f32_e32 v23, v22, v21
	v_fma_f32 v24, -v20, v23, v22
	v_fmac_f32_e32 v23, v24, v21
	v_fma_f32 v20, -v20, v23, v22
	v_div_fmas_f32 v20, v20, v21, v23
	v_div_fixup_f32 v19, v20, v19, 1.0
.LBB5_13:
	s_or_b64 exec, exec, s[0:1]
	v_cmp_o_f16_e32 vcc, v15, v15
	s_and_saveexec_b64 s[0:1], vcc
	s_cbranch_execz .LBB5_15
; %bb.14:
	v_cvt_f32_f16_e64 v14, -v15
	s_mov_b32 s2, 0x3fb8aa3b
	s_mov_b32 s3, 0x32a5705f
	v_mul_f32_e32 v20, 0x3fb8aa3b, v14
	v_rndne_f32_e32 v21, v20
	v_fma_mix_f32 v22, -v15, s2, -v20 op_sel_hi:[1,0,0]
	v_sub_f32_e32 v20, v20, v21
	v_fma_mix_f32 v22, -v15, s3, v22 op_sel_hi:[1,0,0]
	v_add_f32_e32 v20, v20, v22
	v_cvt_i32_f32_e32 v21, v21
	v_exp_f32_e32 v20, v20
	s_mov_b32 s2, 0xc2ce8ed0
	v_cmp_ngt_f32_e32 vcc, s2, v14
	s_mov_b32 s2, 0x42b17218
	v_ldexp_f32 v20, v20, v21
	v_cndmask_b32_e32 v20, 0, v20, vcc
	v_mov_b32_e32 v21, 0x7f800000
	v_cmp_nlt_f32_e32 vcc, s2, v14
	v_cndmask_b32_e32 v14, v21, v20, vcc
	v_add_f32_e32 v14, 1.0, v14
	v_div_scale_f32 v20, s[2:3], v14, v14, 1.0
	v_rcp_f32_e32 v21, v20
	v_fma_f32 v22, -v20, v21, 1.0
	v_fmac_f32_e32 v21, v22, v21
	v_div_scale_f32 v22, vcc, 1.0, v14, 1.0
	v_mul_f32_e32 v23, v22, v21
	v_fma_f32 v24, -v20, v23, v22
	v_fmac_f32_e32 v23, v24, v21
	v_fma_f32 v20, -v20, v23, v22
	v_div_fmas_f32 v20, v20, v21, v23
	v_div_fixup_f32 v14, v20, v14, 1.0
.LBB5_15:
	s_or_b64 exec, exec, s[0:1]
	v_lshrrev_b32_e32 v21, 16, v15
	v_cmp_o_f16_e32 vcc, v21, v21
	v_mov_b32_e32 v20, 0
	v_mov_b32_e32 v15, 0
	s_and_saveexec_b64 s[0:1], vcc
	s_cbranch_execz .LBB5_17
; %bb.16:
	v_cvt_f32_f16_e64 v15, -v21
	s_mov_b32 s2, 0x3fb8aa3b
	s_mov_b32 s3, 0x32a5705f
	v_mul_f32_e32 v22, 0x3fb8aa3b, v15
	v_rndne_f32_e32 v23, v22
	v_fma_mix_f32 v24, -v21, s2, -v22 op_sel_hi:[1,0,0]
	v_sub_f32_e32 v22, v22, v23
	v_fma_mix_f32 v21, -v21, s3, v24 op_sel_hi:[1,0,0]
	v_add_f32_e32 v21, v22, v21
	v_cvt_i32_f32_e32 v22, v23
	v_exp_f32_e32 v21, v21
	s_mov_b32 s2, 0xc2ce8ed0
	v_cmp_ngt_f32_e32 vcc, s2, v15
	s_mov_b32 s2, 0x42b17218
	v_ldexp_f32 v21, v21, v22
	v_cndmask_b32_e32 v21, 0, v21, vcc
	v_mov_b32_e32 v22, 0x7f800000
	v_cmp_nlt_f32_e32 vcc, s2, v15
	v_cndmask_b32_e32 v15, v22, v21, vcc
	v_add_f32_e32 v15, 1.0, v15
	v_div_scale_f32 v21, s[2:3], v15, v15, 1.0
	v_rcp_f32_e32 v22, v21
	v_fma_f32 v23, -v21, v22, 1.0
	v_fmac_f32_e32 v22, v23, v22
	v_div_scale_f32 v23, vcc, 1.0, v15, 1.0
	v_mul_f32_e32 v24, v23, v22
	v_fma_f32 v25, -v21, v24, v23
	v_fmac_f32_e32 v24, v25, v22
	v_fma_f32 v21, -v21, v24, v23
	v_div_fmas_f32 v21, v21, v22, v24
	v_div_fixup_f32 v15, v21, v15, 1.0
.LBB5_17:
	s_or_b64 exec, exec, s[0:1]
	v_cmp_o_f16_e32 vcc, v8, v8
	s_and_saveexec_b64 s[0:1], vcc
	s_cbranch_execz .LBB5_19
; %bb.18:
	v_cvt_f32_f16_e64 v20, -v8
	s_mov_b32 s2, 0x3fb8aa3b
	s_mov_b32 s3, 0x32a5705f
	v_mul_f32_e32 v21, 0x3fb8aa3b, v20
	v_rndne_f32_e32 v22, v21
	v_fma_mix_f32 v23, -v8, s2, -v21 op_sel_hi:[1,0,0]
	v_sub_f32_e32 v21, v21, v22
	v_fma_mix_f32 v23, -v8, s3, v23 op_sel_hi:[1,0,0]
	v_add_f32_e32 v21, v21, v23
	v_cvt_i32_f32_e32 v22, v22
	v_exp_f32_e32 v21, v21
	s_mov_b32 s2, 0xc2ce8ed0
	v_cmp_ngt_f32_e32 vcc, s2, v20
	s_mov_b32 s2, 0x42b17218
	v_ldexp_f32 v21, v21, v22
	v_cndmask_b32_e32 v21, 0, v21, vcc
	v_mov_b32_e32 v22, 0x7f800000
	v_cmp_nlt_f32_e32 vcc, s2, v20
	v_cndmask_b32_e32 v20, v22, v21, vcc
	v_add_f32_e32 v20, 1.0, v20
	v_div_scale_f32 v21, s[2:3], v20, v20, 1.0
	v_rcp_f32_e32 v22, v21
	v_fma_f32 v23, -v21, v22, 1.0
	v_fmac_f32_e32 v22, v23, v22
	v_div_scale_f32 v23, vcc, 1.0, v20, 1.0
	v_mul_f32_e32 v24, v23, v22
	v_fma_f32 v25, -v21, v24, v23
	v_fmac_f32_e32 v24, v25, v22
	v_fma_f32 v21, -v21, v24, v23
	v_div_fmas_f32 v21, v21, v22, v24
	v_div_fixup_f32 v20, v21, v20, 1.0
.LBB5_19:
	s_or_b64 exec, exec, s[0:1]
	v_lshrrev_b32_e32 v22, 16, v8
	v_cmp_o_f16_e32 vcc, v22, v22
	v_mov_b32_e32 v8, 0
	v_mov_b32_e32 v21, 0
	s_and_saveexec_b64 s[0:1], vcc
	s_cbranch_execz .LBB5_21
; %bb.20:
	v_cvt_f32_f16_e64 v21, -v22
	s_mov_b32 s2, 0x3fb8aa3b
	s_mov_b32 s3, 0x32a5705f
	v_mul_f32_e32 v23, 0x3fb8aa3b, v21
	v_rndne_f32_e32 v24, v23
	v_fma_mix_f32 v25, -v22, s2, -v23 op_sel_hi:[1,0,0]
	v_sub_f32_e32 v23, v23, v24
	v_fma_mix_f32 v22, -v22, s3, v25 op_sel_hi:[1,0,0]
	v_add_f32_e32 v22, v23, v22
	v_cvt_i32_f32_e32 v23, v24
	v_exp_f32_e32 v22, v22
	s_mov_b32 s2, 0xc2ce8ed0
	v_cmp_ngt_f32_e32 vcc, s2, v21
	s_mov_b32 s2, 0x42b17218
	v_ldexp_f32 v22, v22, v23
	v_cndmask_b32_e32 v22, 0, v22, vcc
	v_mov_b32_e32 v23, 0x7f800000
	v_cmp_nlt_f32_e32 vcc, s2, v21
	v_cndmask_b32_e32 v21, v23, v22, vcc
	v_add_f32_e32 v21, 1.0, v21
	v_div_scale_f32 v22, s[2:3], v21, v21, 1.0
	v_rcp_f32_e32 v23, v22
	v_fma_f32 v24, -v22, v23, 1.0
	v_fmac_f32_e32 v23, v24, v23
	v_div_scale_f32 v24, vcc, 1.0, v21, 1.0
	v_mul_f32_e32 v25, v24, v23
	v_fma_f32 v26, -v22, v25, v24
	v_fmac_f32_e32 v25, v26, v23
	v_fma_f32 v22, -v22, v25, v24
	v_div_fmas_f32 v22, v22, v23, v25
	v_div_fixup_f32 v21, v22, v21, 1.0
.LBB5_21:
	s_or_b64 exec, exec, s[0:1]
	v_cmp_o_f16_e32 vcc, v9, v9
	s_and_saveexec_b64 s[0:1], vcc
	s_cbranch_execz .LBB5_23
; %bb.22:
	v_cvt_f32_f16_e64 v8, -v9
	s_mov_b32 s2, 0x3fb8aa3b
	s_mov_b32 s3, 0x32a5705f
	v_mul_f32_e32 v22, 0x3fb8aa3b, v8
	v_rndne_f32_e32 v23, v22
	v_fma_mix_f32 v24, -v9, s2, -v22 op_sel_hi:[1,0,0]
	v_sub_f32_e32 v22, v22, v23
	v_fma_mix_f32 v24, -v9, s3, v24 op_sel_hi:[1,0,0]
	v_add_f32_e32 v22, v22, v24
	v_cvt_i32_f32_e32 v23, v23
	v_exp_f32_e32 v22, v22
	s_mov_b32 s2, 0xc2ce8ed0
	v_cmp_ngt_f32_e32 vcc, s2, v8
	s_mov_b32 s2, 0x42b17218
	v_ldexp_f32 v22, v22, v23
	v_cndmask_b32_e32 v22, 0, v22, vcc
	v_mov_b32_e32 v23, 0x7f800000
	v_cmp_nlt_f32_e32 vcc, s2, v8
	v_cndmask_b32_e32 v8, v23, v22, vcc
	v_add_f32_e32 v8, 1.0, v8
	v_div_scale_f32 v22, s[2:3], v8, v8, 1.0
	v_rcp_f32_e32 v23, v22
	v_fma_f32 v24, -v22, v23, 1.0
	v_fmac_f32_e32 v23, v24, v23
	v_div_scale_f32 v24, vcc, 1.0, v8, 1.0
	v_mul_f32_e32 v25, v24, v23
	v_fma_f32 v26, -v22, v25, v24
	v_fmac_f32_e32 v25, v26, v23
	v_fma_f32 v22, -v22, v25, v24
	v_div_fmas_f32 v22, v22, v23, v25
	v_div_fixup_f32 v8, v22, v8, 1.0
.LBB5_23:
	s_or_b64 exec, exec, s[0:1]
	v_lshrrev_b32_e32 v23, 16, v9
	v_cmp_o_f16_e32 vcc, v23, v23
	v_mov_b32_e32 v22, 0
	v_mov_b32_e32 v9, 0
	s_and_saveexec_b64 s[0:1], vcc
	s_cbranch_execz .LBB5_25
; %bb.24:
	v_cvt_f32_f16_e64 v9, -v23
	s_mov_b32 s2, 0x3fb8aa3b
	s_mov_b32 s3, 0x32a5705f
	v_mul_f32_e32 v24, 0x3fb8aa3b, v9
	v_rndne_f32_e32 v25, v24
	v_fma_mix_f32 v26, -v23, s2, -v24 op_sel_hi:[1,0,0]
	v_sub_f32_e32 v24, v24, v25
	v_fma_mix_f32 v23, -v23, s3, v26 op_sel_hi:[1,0,0]
	v_add_f32_e32 v23, v24, v23
	v_cvt_i32_f32_e32 v24, v25
	v_exp_f32_e32 v23, v23
	s_mov_b32 s2, 0xc2ce8ed0
	v_cmp_ngt_f32_e32 vcc, s2, v9
	s_mov_b32 s2, 0x42b17218
	v_ldexp_f32 v23, v23, v24
	v_cndmask_b32_e32 v23, 0, v23, vcc
	v_mov_b32_e32 v24, 0x7f800000
	v_cmp_nlt_f32_e32 vcc, s2, v9
	v_cndmask_b32_e32 v9, v24, v23, vcc
	v_add_f32_e32 v9, 1.0, v9
	v_div_scale_f32 v23, s[2:3], v9, v9, 1.0
	v_rcp_f32_e32 v24, v23
	v_fma_f32 v25, -v23, v24, 1.0
	v_fmac_f32_e32 v24, v25, v24
	v_div_scale_f32 v25, vcc, 1.0, v9, 1.0
	v_mul_f32_e32 v26, v25, v24
	v_fma_f32 v27, -v23, v26, v25
	v_fmac_f32_e32 v26, v27, v24
	v_fma_f32 v23, -v23, v26, v25
	v_div_fmas_f32 v23, v23, v24, v26
	v_div_fixup_f32 v9, v23, v9, 1.0
.LBB5_25:
	s_or_b64 exec, exec, s[0:1]
	v_cmp_o_f16_e32 vcc, v10, v10
	s_and_saveexec_b64 s[0:1], vcc
	s_cbranch_execz .LBB5_27
; %bb.26:
	v_cvt_f32_f16_e64 v22, -v10
	s_mov_b32 s2, 0x3fb8aa3b
	s_mov_b32 s3, 0x32a5705f
	v_mul_f32_e32 v23, 0x3fb8aa3b, v22
	v_rndne_f32_e32 v24, v23
	v_fma_mix_f32 v25, -v10, s2, -v23 op_sel_hi:[1,0,0]
	v_sub_f32_e32 v23, v23, v24
	v_fma_mix_f32 v25, -v10, s3, v25 op_sel_hi:[1,0,0]
	v_add_f32_e32 v23, v23, v25
	v_cvt_i32_f32_e32 v24, v24
	v_exp_f32_e32 v23, v23
	s_mov_b32 s2, 0xc2ce8ed0
	v_cmp_ngt_f32_e32 vcc, s2, v22
	s_mov_b32 s2, 0x42b17218
	v_ldexp_f32 v23, v23, v24
	v_cndmask_b32_e32 v23, 0, v23, vcc
	v_mov_b32_e32 v24, 0x7f800000
	v_cmp_nlt_f32_e32 vcc, s2, v22
	v_cndmask_b32_e32 v22, v24, v23, vcc
	v_add_f32_e32 v22, 1.0, v22
	v_div_scale_f32 v23, s[2:3], v22, v22, 1.0
	v_rcp_f32_e32 v24, v23
	v_fma_f32 v25, -v23, v24, 1.0
	v_fmac_f32_e32 v24, v25, v24
	v_div_scale_f32 v25, vcc, 1.0, v22, 1.0
	v_mul_f32_e32 v26, v25, v24
	v_fma_f32 v27, -v23, v26, v25
	v_fmac_f32_e32 v26, v27, v24
	v_fma_f32 v23, -v23, v26, v25
	v_div_fmas_f32 v23, v23, v24, v26
	v_div_fixup_f32 v22, v23, v22, 1.0
.LBB5_27:
	s_or_b64 exec, exec, s[0:1]
	v_lshrrev_b32_e32 v24, 16, v10
	v_cmp_o_f16_e32 vcc, v24, v24
	v_mov_b32_e32 v10, 0
	v_mov_b32_e32 v23, 0
	s_and_saveexec_b64 s[0:1], vcc
	s_cbranch_execz .LBB5_29
; %bb.28:
	v_cvt_f32_f16_e64 v23, -v24
	s_mov_b32 s2, 0x3fb8aa3b
	s_mov_b32 s3, 0x32a5705f
	v_mul_f32_e32 v25, 0x3fb8aa3b, v23
	v_rndne_f32_e32 v26, v25
	v_fma_mix_f32 v27, -v24, s2, -v25 op_sel_hi:[1,0,0]
	v_sub_f32_e32 v25, v25, v26
	v_fma_mix_f32 v24, -v24, s3, v27 op_sel_hi:[1,0,0]
	v_add_f32_e32 v24, v25, v24
	v_cvt_i32_f32_e32 v25, v26
	v_exp_f32_e32 v24, v24
	s_mov_b32 s2, 0xc2ce8ed0
	v_cmp_ngt_f32_e32 vcc, s2, v23
	s_mov_b32 s2, 0x42b17218
	v_ldexp_f32 v24, v24, v25
	v_cndmask_b32_e32 v24, 0, v24, vcc
	v_mov_b32_e32 v25, 0x7f800000
	v_cmp_nlt_f32_e32 vcc, s2, v23
	v_cndmask_b32_e32 v23, v25, v24, vcc
	v_add_f32_e32 v23, 1.0, v23
	v_div_scale_f32 v24, s[2:3], v23, v23, 1.0
	v_rcp_f32_e32 v25, v24
	v_fma_f32 v26, -v24, v25, 1.0
	v_fmac_f32_e32 v25, v26, v25
	v_div_scale_f32 v26, vcc, 1.0, v23, 1.0
	v_mul_f32_e32 v27, v26, v25
	v_fma_f32 v28, -v24, v27, v26
	v_fmac_f32_e32 v27, v28, v25
	v_fma_f32 v24, -v24, v27, v26
	v_div_fmas_f32 v24, v24, v25, v27
	v_div_fixup_f32 v23, v24, v23, 1.0
.LBB5_29:
	s_or_b64 exec, exec, s[0:1]
	v_cmp_o_f16_e32 vcc, v11, v11
	s_and_saveexec_b64 s[0:1], vcc
	s_cbranch_execz .LBB5_31
; %bb.30:
	v_cvt_f32_f16_e64 v10, -v11
	s_mov_b32 s2, 0x3fb8aa3b
	s_mov_b32 s3, 0x32a5705f
	v_mul_f32_e32 v24, 0x3fb8aa3b, v10
	v_rndne_f32_e32 v25, v24
	v_fma_mix_f32 v26, -v11, s2, -v24 op_sel_hi:[1,0,0]
	v_sub_f32_e32 v24, v24, v25
	v_fma_mix_f32 v26, -v11, s3, v26 op_sel_hi:[1,0,0]
	v_add_f32_e32 v24, v24, v26
	v_cvt_i32_f32_e32 v25, v25
	v_exp_f32_e32 v24, v24
	s_mov_b32 s2, 0xc2ce8ed0
	v_cmp_ngt_f32_e32 vcc, s2, v10
	s_mov_b32 s2, 0x42b17218
	v_ldexp_f32 v24, v24, v25
	v_cndmask_b32_e32 v24, 0, v24, vcc
	v_mov_b32_e32 v25, 0x7f800000
	v_cmp_nlt_f32_e32 vcc, s2, v10
	v_cndmask_b32_e32 v10, v25, v24, vcc
	v_add_f32_e32 v10, 1.0, v10
	v_div_scale_f32 v24, s[2:3], v10, v10, 1.0
	v_rcp_f32_e32 v25, v24
	v_fma_f32 v26, -v24, v25, 1.0
	v_fmac_f32_e32 v25, v26, v25
	v_div_scale_f32 v26, vcc, 1.0, v10, 1.0
	v_mul_f32_e32 v27, v26, v25
	v_fma_f32 v28, -v24, v27, v26
	v_fmac_f32_e32 v27, v28, v25
	v_fma_f32 v24, -v24, v27, v26
	v_div_fmas_f32 v24, v24, v25, v27
	v_div_fixup_f32 v10, v24, v10, 1.0
.LBB5_31:
	s_or_b64 exec, exec, s[0:1]
	v_lshrrev_b32_e32 v24, 16, v11
	v_cmp_o_f16_e32 vcc, v24, v24
	v_mov_b32_e32 v11, 0
	s_and_saveexec_b64 s[0:1], vcc
	s_cbranch_execz .LBB5_33
; %bb.32:
	v_cvt_f32_f16_e64 v11, -v24
	s_mov_b32 s2, 0x3fb8aa3b
	s_mov_b32 s3, 0x32a5705f
	v_mul_f32_e32 v25, 0x3fb8aa3b, v11
	v_rndne_f32_e32 v26, v25
	v_fma_mix_f32 v27, -v24, s2, -v25 op_sel_hi:[1,0,0]
	v_sub_f32_e32 v25, v25, v26
	v_fma_mix_f32 v24, -v24, s3, v27 op_sel_hi:[1,0,0]
	v_add_f32_e32 v24, v25, v24
	v_cvt_i32_f32_e32 v25, v26
	v_exp_f32_e32 v24, v24
	s_mov_b32 s2, 0xc2ce8ed0
	v_cmp_ngt_f32_e32 vcc, s2, v11
	s_mov_b32 s2, 0x42b17218
	v_ldexp_f32 v24, v24, v25
	v_cndmask_b32_e32 v24, 0, v24, vcc
	v_mov_b32_e32 v25, 0x7f800000
	v_cmp_nlt_f32_e32 vcc, s2, v11
	v_cndmask_b32_e32 v11, v25, v24, vcc
	v_add_f32_e32 v11, 1.0, v11
	v_div_scale_f32 v24, s[2:3], v11, v11, 1.0
	v_rcp_f32_e32 v25, v24
	v_fma_f32 v26, -v24, v25, 1.0
	v_fmac_f32_e32 v25, v26, v25
	v_div_scale_f32 v26, vcc, 1.0, v11, 1.0
	v_mul_f32_e32 v27, v26, v25
	v_fma_f32 v28, -v24, v27, v26
	v_fmac_f32_e32 v27, v28, v25
	v_fma_f32 v24, -v24, v27, v26
	v_div_fmas_f32 v24, v24, v25, v27
	v_div_fixup_f32 v11, v24, v11, 1.0
.LBB5_33:
	s_or_b64 exec, exec, s[0:1]
	s_waitcnt vmcnt(0)
	v_cvt_f32_f16_e32 v24, v4
	v_cvt_f32_f16_sdwa v4, v4 dst_sel:DWORD dst_unused:UNUSED_PAD src0_sel:WORD_1
	s_mov_b32 s2, 0xff7fffff
	v_add_f32_e32 v39, v37, v24
	v_add_f32_e32 v40, v38, v4
	v_max_f32_e32 v4, 0xff7fffff, v39
	v_cmp_ngt_f32_e32 vcc, v40, v4
	v_mov_b32_e32 v24, v4
	v_mov_b32_e32 v25, v40
	s_and_saveexec_b64 s[0:1], vcc
	s_cbranch_execz .LBB5_37
; %bb.34:
	v_cmp_lt_f32_e32 vcc, s2, v40
	v_mov_b32_e32 v24, 0xff7fffff
	s_and_saveexec_b64 s[2:3], vcc
; %bb.35:
	v_mov_b32_e32 v24, v40
; %bb.36:
	s_or_b64 exec, exec, s[2:3]
	v_mov_b32_e32 v25, v4
.LBB5_37:
	s_or_b64 exec, exec, s[0:1]
	v_cvt_f32_f16_sdwa v27, v5 dst_sel:DWORD dst_unused:UNUSED_PAD src0_sel:WORD_1
	v_cvt_f32_f16_e32 v26, v5
	v_mov_b32_e32 v28, v25
	v_pk_add_f32 v[4:5], v[12:13], v[26:27]
	v_cmp_ngt_f32_e32 vcc, v4, v25
	v_mov_b32_e32 v29, v4
	s_and_saveexec_b64 s[0:1], vcc
	s_cbranch_execz .LBB5_41
; %bb.38:
	v_cmp_gt_f32_e32 vcc, v4, v24
	s_and_saveexec_b64 s[2:3], vcc
; %bb.39:
	v_mov_b32_e32 v24, v4
; %bb.40:
	s_or_b64 exec, exec, s[2:3]
	v_mov_b32_e32 v28, v24
	v_mov_b32_e32 v29, v25
.LBB5_41:
	s_or_b64 exec, exec, s[0:1]
	v_cmp_ngt_f32_e32 vcc, v5, v29
	v_mov_b32_e32 v27, v29
	v_mov_b32_e32 v26, v5
	s_and_saveexec_b64 s[0:1], vcc
	s_cbranch_execz .LBB5_45
; %bb.42:
	v_cmp_gt_f32_e32 vcc, v5, v28
	s_and_saveexec_b64 s[2:3], vcc
; %bb.43:
	v_mov_b32_e32 v28, v5
; %bb.44:
	s_or_b64 exec, exec, s[2:3]
	v_mov_b32_e32 v27, v28
	v_mov_b32_e32 v26, v29
.LBB5_45:
	s_or_b64 exec, exec, s[0:1]
	v_cvt_f32_f16_sdwa v25, v6 dst_sel:DWORD dst_unused:UNUSED_PAD src0_sel:WORD_1
	v_cvt_f32_f16_e32 v24, v6
	v_mov_b32_e32 v29, v26
	v_pk_add_f32 v[24:25], v[18:19], v[24:25]
	v_cmp_ngt_f32_e32 vcc, v24, v26
	v_mov_b32_e32 v30, v24
	s_and_saveexec_b64 s[0:1], vcc
	s_cbranch_execz .LBB5_49
; %bb.46:
	v_cmp_gt_f32_e32 vcc, v24, v27
	s_and_saveexec_b64 s[2:3], vcc
; %bb.47:
	v_mov_b32_e32 v27, v24
; %bb.48:
	s_or_b64 exec, exec, s[2:3]
	v_mov_b32_e32 v29, v27
	v_mov_b32_e32 v30, v26
.LBB5_49:
	s_or_b64 exec, exec, s[0:1]
	v_cmp_ngt_f32_e32 vcc, v25, v30
	v_mov_b32_e32 v28, v30
	v_mov_b32_e32 v6, v25
	s_and_saveexec_b64 s[0:1], vcc
	s_cbranch_execz .LBB5_53
; %bb.50:
	v_cmp_gt_f32_e32 vcc, v25, v29
	s_and_saveexec_b64 s[2:3], vcc
; %bb.51:
	v_mov_b32_e32 v29, v25
; %bb.52:
	s_or_b64 exec, exec, s[2:3]
	v_mov_b32_e32 v28, v29
	v_mov_b32_e32 v6, v30
.LBB5_53:
	;; [unrolled: 35-line block ×7, first 2 shown]
	s_or_b64 exec, exec, s[0:1]
	v_cmp_lt_i64_e64 s[0:1], s[46:47], 16
	v_lshlrev_b32_e32 v42, 4, v36
	s_and_b64 vcc, exec, s[0:1]
	s_cbranch_vccz .LBB5_96
; %bb.94:
	s_sub_u32 s6, 16, s46
	s_subb_u32 s7, 0, s47
	v_add_f32_e32 v6, v6, v7
	s_mov_b64 s[8:9], 0
	v_mov_b32_e32 v7, 0x7f7fffff
.LBB5_95:                               ; =>This Inner Loop Header: Depth=1
	v_mov_b32_dpp v33, v42 quad_perm:[1,0,3,2] row_mask:0xf bank_mask:0xf
	v_mov_b32_dpp v34, v6 quad_perm:[1,0,3,2] row_mask:0xf bank_mask:0xf
	v_cmp_eq_f32_e64 s[0:1], v6, v34
	v_cmp_lt_i32_e64 s[2:3], v42, v33
	v_cmp_lt_f32_e32 vcc, v6, v34
	s_and_b64 s[0:1], s[2:3], s[0:1]
	s_or_b64 vcc, vcc, s[0:1]
	v_cndmask_b32_e32 v34, v34, v6, vcc
	v_cndmask_b32_e32 v33, v33, v42, vcc
	s_nop 0
	v_mov_b32_dpp v41, v34 quad_perm:[2,3,0,1] row_mask:0xf bank_mask:0xf
	v_mov_b32_dpp v35, v33 quad_perm:[2,3,0,1] row_mask:0xf bank_mask:0xf
	v_cmp_eq_f32_e32 vcc, v34, v41
	v_cmp_lt_i32_e64 s[0:1], v33, v35
	s_and_b64 vcc, vcc, s[0:1]
	v_cmp_lt_f32_e64 s[0:1], v34, v41
	v_cndmask_b32_e32 v43, v41, v34, vcc
	s_or_b64 vcc, s[0:1], vcc
	v_cndmask_b32_e64 v34, v43, v34, s[0:1]
	v_cndmask_b32_e32 v33, v35, v33, vcc
	s_nop 0
	v_mov_b32_dpp v41, v34 row_half_mirror row_mask:0xf bank_mask:0xf
	v_mov_b32_dpp v35, v33 row_half_mirror row_mask:0xf bank_mask:0xf
	v_cmp_eq_f32_e32 vcc, v34, v41
	v_cmp_lt_i32_e64 s[0:1], v33, v35
	s_and_b64 vcc, vcc, s[0:1]
	v_cmp_lt_f32_e64 s[0:1], v34, v41
	v_cndmask_b32_e32 v43, v41, v34, vcc
	s_or_b64 vcc, s[0:1], vcc
	v_cndmask_b32_e64 v34, v43, v34, s[0:1]
	v_cndmask_b32_e32 v33, v35, v33, vcc
	s_add_u32 s8, s8, 1
	v_mov_b32_dpp v41, v34 row_mirror row_mask:0xf bank_mask:0xf
	v_mov_b32_dpp v35, v33 row_mirror row_mask:0xf bank_mask:0xf
	v_min_i32_e32 v43, v33, v35
	v_cmp_eq_f32_e32 vcc, v34, v41
	v_cndmask_b32_e32 v35, v35, v43, vcc
	v_cmp_lt_f32_e32 vcc, v34, v41
	v_cndmask_b32_e32 v33, v35, v33, vcc
	v_ashrrev_i32_e32 v34, 31, v33
	v_lshrrev_b32_e32 v34, 28, v34
	v_add_u32_e32 v33, v33, v34
	v_ashrrev_i32_e32 v33, 4, v33
	s_addc_u32 s9, s9, 0
	v_cmp_eq_u32_e32 vcc, v36, v33
	v_pk_mov_b32 v[34:35], s[8:9], s[8:9] op_sel:[0,1]
	v_cndmask_b32_e32 v39, v39, v7, vcc
	v_cndmask_b32_e32 v6, v6, v7, vcc
	v_cmp_le_i64_e32 vcc, s[6:7], v[34:35]
	s_cbranch_vccz .LBB5_95
.LBB5_96:
	s_sub_u32 s36, s48, s50
	s_subb_u32 s37, s49, s51
	s_mov_b64 s[0:1], src_shared_base
	s_cmp_lg_u32 0, -1
	s_cselect_b32 s0, s1, 0
	s_cselect_b32 s1, 0, 0
	s_add_u32 s1, s1, 0xff
	s_addc_u32 s0, s0, 0
	s_and_b32 s1, s1, 0xffffff00
	v_mov_b32_e32 v6, s1
	v_mov_b32_e32 v7, s0
	v_lshlrev_b32_e32 v33, 2, v32
	v_mad_u64_u32 v[6:7], s[0:1], v33, s48, v[6:7]
	s_load_dword s33, s[4:5], 0x48
	v_mov_b32_e32 v32, v7
	v_mad_u64_u32 v[32:33], s[0:1], v33, s49, v[32:33]
	v_cmp_lt_i64_e64 s[0:1], s[36:37], 1
	v_mov_b32_e32 v7, v32
	s_and_b64 vcc, exec, s[0:1]
	v_cmp_eq_u32_e64 s[0:1], 0, v36
	s_cbranch_vccnz .LBB5_107
; %bb.97:
	s_waitcnt lgkmcnt(0)
	v_mad_u64_u32 v[32:33], s[2:3], s33, v16, 0
	s_ashr_i32 s6, s33, 31
	v_mov_b32_e32 v34, v33
	v_mad_u64_u32 v[34:35], s[2:3], s6, v16, v[34:35]
	v_mov_b32_e32 v33, v34
	v_lshlrev_b64 v[32:33], 2, v[32:33]
	v_mov_b32_e32 v34, s43
	v_add_co_u32_e32 v32, vcc, s42, v32
	v_addc_co_u32_e32 v33, vcc, v34, v33, vcc
	v_mul_u32_u24_e32 v43, 16, v36
	s_mov_b64 s[38:39], 0
	v_mov_b32_e32 v41, 0
	s_mov_b32 s52, 0x7f7fffff
	v_mov_b32_e32 v44, 0xff7fffff
	v_pk_mov_b32 v[34:35], v[6:7], v[6:7] op_sel:[0,1]
	s_branch .LBB5_99
.LBB5_98:                               ;   in Loop: Header=BB5_99 Depth=1
	s_or_b64 exec, exec, s[2:3]
	v_add_co_u32_e32 v32, vcc, 4, v32
	s_add_u32 s38, s38, 1
	v_addc_co_u32_e32 v33, vcc, 0, v33, vcc
	s_addc_u32 s39, s39, 0
	v_add_co_u32_e32 v34, vcc, 4, v34
	v_addc_co_u32_e32 v35, vcc, 0, v35, vcc
	v_pk_mov_b32 v[46:47], s[38:39], s[38:39] op_sel:[0,1]
	v_cmp_le_i64_e32 vcc, s[36:37], v[46:47]
	s_cbranch_vccnz .LBB5_108
.LBB5_99:                               ; =>This Inner Loop Header: Depth=1
	v_cmp_neq_f32_e32 vcc, s52, v39
	v_mov_b32_e32 v45, 0xff7fffff
	v_mov_b32_e32 v46, v42
	s_and_saveexec_b64 s[2:3], vcc
	s_cbranch_execz .LBB5_101
; %bb.100:                              ;   in Loop: Header=BB5_99 Depth=1
	v_cmp_gt_f32_e32 vcc, v40, v39
	v_cndmask_b32_e32 v45, v39, v40, vcc
	v_cndmask_b32_e64 v46, 0, 1, vcc
	v_cmp_gt_f32_e32 vcc, v4, v45
	v_cndmask_b32_e32 v45, v45, v4, vcc
	v_cndmask_b32_e64 v46, v46, 2, vcc
	;; [unrolled: 3-line block ×14, first 2 shown]
	v_cmp_gt_f32_e32 vcc, v3, v45
	v_cndmask_b32_e64 v46, v46, 15, vcc
	v_cndmask_b32_e32 v45, v45, v3, vcc
	v_or_b32_e32 v46, v46, v42
.LBB5_101:                              ;   in Loop: Header=BB5_99 Depth=1
	s_or_b64 exec, exec, s[2:3]
	s_nop 0
	v_mov_b32_dpp v47, v46 quad_perm:[1,0,3,2] row_mask:0xf bank_mask:0xf
	v_mov_b32_dpp v48, v45 quad_perm:[1,0,3,2] row_mask:0xf bank_mask:0xf
	v_cmp_eq_f32_e64 s[2:3], v45, v48
	v_cmp_lt_i32_e64 s[6:7], v46, v47
	v_cmp_gt_f32_e32 vcc, v45, v48
	s_and_b64 s[2:3], s[2:3], s[6:7]
	s_or_b64 vcc, vcc, s[2:3]
	v_cndmask_b32_e32 v45, v48, v45, vcc
	v_cndmask_b32_e32 v46, v47, v46, vcc
	s_nop 0
	v_mov_b32_dpp v48, v45 quad_perm:[2,3,0,1] row_mask:0xf bank_mask:0xf
	v_mov_b32_dpp v47, v46 quad_perm:[2,3,0,1] row_mask:0xf bank_mask:0xf
	v_cmp_eq_f32_e32 vcc, v45, v48
	v_cmp_lt_i32_e64 s[2:3], v46, v47
	s_and_b64 vcc, vcc, s[2:3]
	v_cmp_gt_f32_e64 s[2:3], v45, v48
	v_cndmask_b32_e32 v49, v48, v45, vcc
	s_or_b64 vcc, s[2:3], vcc
	v_cndmask_b32_e64 v45, v49, v45, s[2:3]
	v_cndmask_b32_e32 v46, v47, v46, vcc
	s_nop 0
	v_mov_b32_dpp v48, v45 row_half_mirror row_mask:0xf bank_mask:0xf
	v_mov_b32_dpp v47, v46 row_half_mirror row_mask:0xf bank_mask:0xf
	v_cmp_eq_f32_e32 vcc, v45, v48
	v_cmp_lt_i32_e64 s[2:3], v46, v47
	s_and_b64 vcc, vcc, s[2:3]
	v_cmp_gt_f32_e64 s[2:3], v45, v48
	v_cndmask_b32_e32 v49, v48, v45, vcc
	s_or_b64 vcc, s[2:3], vcc
	v_cndmask_b32_e64 v45, v49, v45, s[2:3]
	v_cndmask_b32_e32 v46, v47, v46, vcc
	s_nop 0
	v_mov_b32_dpp v48, v45 row_mirror row_mask:0xf bank_mask:0xf
	v_mov_b32_dpp v47, v46 row_mirror row_mask:0xf bank_mask:0xf
	v_min_i32_e32 v49, v46, v47
	v_cmp_eq_f32_e32 vcc, v45, v48
	v_cndmask_b32_e32 v47, v47, v49, vcc
	v_cmp_gt_f32_e32 vcc, v45, v48
	v_cndmask_b32_e32 v45, v47, v46, vcc
	v_ashrrev_i32_e32 v46, 31, v45
	v_lshrrev_b32_e32 v46, 28, v46
	v_add_u32_e32 v46, v45, v46
	v_ashrrev_i32_e32 v46, 4, v46
	v_cmp_eq_u32_e32 vcc, v36, v46
	s_and_saveexec_b64 s[44:45], vcc
	s_cbranch_execz .LBB5_105
; %bb.102:                              ;   in Loop: Header=BB5_99 Depth=1
	v_sub_u32_e32 v46, v45, v43
	v_cmp_eq_u32_e64 s[26:27], 1, v46
	v_cmp_eq_u32_e64 s[28:29], 3, v46
	v_cmp_eq_u32_e64 s[30:31], 2, v46
	v_cmp_eq_u32_e64 s[22:23], 5, v46
	v_cmp_eq_u32_e64 s[24:25], 4, v46
	v_cmp_eq_u32_e64 s[18:19], 7, v46
	v_cmp_eq_u32_e64 s[20:21], 6, v46
	v_cmp_eq_u32_e64 s[14:15], 9, v46
	v_cmp_eq_u32_e64 s[16:17], 8, v46
	v_cmp_eq_u32_e64 s[10:11], 11, v46
	v_cmp_eq_u32_e64 s[12:13], 10, v46
	v_cmp_eq_u32_e64 s[6:7], 13, v46
	v_cmp_eq_u32_e64 s[8:9], 12, v46
	v_cmp_eq_u32_e32 vcc, 15, v46
	v_cmp_eq_u32_e64 s[2:3], 14, v46
	v_cmp_gt_u32_e64 s[34:35], 16, v46
	s_and_saveexec_b64 s[46:47], s[34:35]
	s_cbranch_execz .LBB5_104
; %bb.103:                              ;   in Loop: Header=BB5_99 Depth=1
	v_cndmask_b32_e64 v47, v37, v38, s[26:27]
	v_cndmask_b32_e64 v47, v47, v12, s[30:31]
	v_cndmask_b32_e64 v47, v47, v13, s[28:29]
	v_cndmask_b32_e64 v47, v47, v18, s[24:25]
	v_cndmask_b32_e64 v47, v47, v19, s[22:23]
	v_cndmask_b32_e64 v47, v47, v14, s[20:21]
	v_cndmask_b32_e64 v47, v47, v15, s[18:19]
	v_cndmask_b32_e64 v47, v47, v20, s[16:17]
	v_cndmask_b32_e64 v47, v47, v21, s[14:15]
	v_cndmask_b32_e64 v47, v47, v8, s[12:13]
	v_cndmask_b32_e64 v47, v47, v9, s[10:11]
	v_cndmask_b32_e64 v47, v47, v22, s[8:9]
	v_cndmask_b32_e64 v47, v47, v23, s[6:7]
	v_cndmask_b32_e64 v47, v47, v10, s[2:3]
	v_cndmask_b32_e32 v47, v47, v11, vcc
	flat_store_dword v[34:35], v47
.LBB5_104:                              ;   in Loop: Header=BB5_99 Depth=1
	s_or_b64 exec, exec, s[46:47]
	v_cmp_ne_u32_e64 s[34:35], 0, v46
	v_cndmask_b32_e64 v39, v44, v39, s[34:35]
	v_cndmask_b32_e64 v40, v40, v44, s[26:27]
	;; [unrolled: 1-line block ×14, first 2 shown]
	v_cndmask_b32_e32 v3, v3, v44, vcc
	v_cndmask_b32_e64 v2, v2, v44, s[2:3]
	global_store_dword v[32:33], v45, off
.LBB5_105:                              ;   in Loop: Header=BB5_99 Depth=1
	s_or_b64 exec, exec, s[44:45]
	s_waitcnt lgkmcnt(0)
	s_barrier
	s_and_saveexec_b64 s[2:3], s[0:1]
	s_cbranch_execz .LBB5_98
; %bb.106:                              ;   in Loop: Header=BB5_99 Depth=1
	flat_load_dword v45, v[34:35]
	s_waitcnt vmcnt(0) lgkmcnt(0)
	v_add_f32_e32 v41, v41, v45
	s_branch .LBB5_98
.LBB5_107:
	v_mov_b32_e32 v41, 0
.LBB5_108:
	v_cmp_eq_u32_e64 s[0:1], 0, v36
	v_cmp_gt_i64_e64 s[2:3], s[50:51], 0
	s_and_b64 s[6:7], s[0:1], s[2:3]
	s_and_saveexec_b64 s[2:3], s[6:7]
	s_cbranch_execz .LBB5_121
; %bb.109:
	v_cmp_le_u64_e32 vcc, s[50:51], v[16:17]
	v_pk_mov_b32 v[0:1], v[16:17], v[16:17] op_sel:[0,1]
	s_and_saveexec_b64 s[6:7], vcc
	s_cbranch_execz .LBB5_111
; %bb.110:
	v_cvt_f32_u32_e32 v0, s50
	s_sub_i32 s8, 0, s50
	v_rcp_iflag_f32_e32 v0, v0
	v_mul_f32_e32 v0, 0x4f7ffffe, v0
	v_cvt_u32_f32_e32 v0, v0
	v_mul_lo_u32 v1, s8, v0
	v_mul_hi_u32 v1, v0, v1
	v_add_u32_e32 v0, v0, v1
	v_mul_hi_u32 v0, v16, v0
	v_mul_lo_u32 v0, v0, s50
	v_sub_u32_e32 v0, v16, v0
	v_subrev_u32_e32 v1, s50, v0
	v_cmp_le_u32_e32 vcc, s50, v0
	v_cndmask_b32_e32 v0, v0, v1, vcc
	v_subrev_u32_e32 v1, s50, v0
	v_cmp_le_u32_e32 vcc, s50, v0
	v_cndmask_b32_e32 v0, v0, v1, vcc
	v_mov_b32_e32 v1, 0
.LBB5_111:
	s_or_b64 exec, exec, s[6:7]
	s_load_dwordx2 s[4:5], s[4:5], 0x40
	v_cvt_f64_f32_e32 v[8:9], v41
	v_pk_mov_b32 v[2:3], s[36:37], s[36:37] op_sel:[0,1]
	s_waitcnt lgkmcnt(0)
	v_mad_u64_u32 v[10:11], s[6:7], s33, v16, v[2:3]
	v_div_scale_f64 v[12:13], s[6:7], s[4:5], s[4:5], v[8:9]
	v_rcp_f64_e32 v[14:15], v[12:13]
	s_ashr_i32 s8, s33, 31
	v_mov_b32_e32 v2, v11
	v_mad_u64_u32 v[2:3], s[6:7], s8, v16, v[2:3]
	v_mov_b32_e32 v11, v2
	v_lshlrev_b64 v[2:3], 2, v[10:11]
	v_fma_f64 v[18:19], -v[12:13], v[14:15], 1.0
	v_mov_b32_e32 v5, s43
	v_add_co_u32_e32 v4, vcc, s42, v2
	v_fmac_f64_e32 v[14:15], v[14:15], v[18:19]
	v_addc_co_u32_e32 v5, vcc, v5, v3, vcc
	v_fma_f64 v[18:19], -v[12:13], v[14:15], 1.0
	v_fmac_f64_e32 v[14:15], v[14:15], v[18:19]
	v_div_scale_f64 v[18:19], vcc, v[8:9], s[4:5], v[8:9]
	v_mul_f64 v[20:21], v[18:19], v[14:15]
	v_fma_f64 v[12:13], -v[12:13], v[20:21], v[18:19]
	v_add_u32_e32 v17, 0x100, v0
	s_nop 0
	v_div_fmas_f64 v[12:13], v[12:13], v[14:15], v[20:21]
	v_div_fixup_f64 v[8:9], v[12:13], s[4:5], v[8:9]
	v_cvt_f32_f64_e32 v8, v[8:9]
	v_mov_b32_e32 v9, s41
	v_add_co_u32_e32 v14, vcc, s40, v2
	v_addc_co_u32_e32 v15, vcc, v9, v3, vcc
	v_cmp_lt_u64_e64 s[4:5], s[50:51], 2
	s_and_b64 vcc, exec, s[4:5]
	global_store_dword v[4:5], v17, off
	global_store_dword v[14:15], v8, off
	s_cbranch_vccnz .LBB5_121
; %bb.112:
	s_cmp_eq_u64 s[50:51], 2
	s_cbranch_scc1 .LBB5_117
; %bb.113:
	v_add_co_u32_e32 v2, vcc, 1, v0
	v_addc_co_u32_e32 v3, vcc, 0, v1, vcc
	s_add_u32 s4, s50, -1
	v_add_co_u32_e32 v12, vcc, 4, v4
	s_addc_u32 s5, s51, -1
	v_addc_co_u32_e32 v13, vcc, 0, v5, vcc
	s_and_b32 s6, s4, -2
	s_mov_b32 s7, s5
	v_add_co_u32_e32 v14, vcc, 4, v14
	v_pk_mov_b32 v[4:5], v[2:3], v[2:3] op_sel:[0,1]
	v_mov_b32_e32 v9, v8
	v_addc_co_u32_e32 v15, vcc, 0, v15, vcc
	s_mov_b64 s[8:9], s[6:7]
	v_pk_mov_b32 v[2:3], v[0:1], v[0:1] op_sel:[0,1]
.LBB5_114:                              ; =>This Inner Loop Header: Depth=1
	v_add_u32_e32 v19, 0x101, v4
	v_add_co_u32_e32 v4, vcc, 2, v4
	v_addc_co_u32_e32 v5, vcc, 0, v5, vcc
	v_add_u32_e32 v18, 0x101, v2
	v_add_co_u32_e32 v2, vcc, 2, v2
	v_addc_co_u32_e32 v3, vcc, 0, v3, vcc
	global_store_dwordx2 v[14:15], v[8:9], off
	v_add_co_u32_e32 v14, vcc, 8, v14
	v_addc_co_u32_e32 v15, vcc, 0, v15, vcc
	s_add_u32 s8, s8, -2
	global_store_dwordx2 v[12:13], v[18:19], off
	s_addc_u32 s9, s9, -1
	v_add_co_u32_e32 v12, vcc, 8, v12
	s_cmp_lg_u64 s[8:9], 0
	v_addc_co_u32_e32 v13, vcc, 0, v13, vcc
	s_cbranch_scc1 .LBB5_114
; %bb.115:
	s_cmp_eq_u64 s[4:5], s[6:7]
	s_cbranch_scc1 .LBB5_118
; %bb.116:
	v_mov_b32_e32 v1, s7
	v_add_co_u32_e32 v10, vcc, s6, v10
	s_or_b32 s4, s4, 1
	v_add_u32_e32 v0, s6, v0
	v_addc_co_u32_e32 v11, vcc, v11, v1, vcc
	s_cbranch_execnz .LBB5_119
	s_branch .LBB5_121
.LBB5_117:
	s_mov_b32 s4, 1
	s_cbranch_execnz .LBB5_119
	s_branch .LBB5_121
.LBB5_118:
	s_mov_b32 s4, 1
                                        ; implicit-def: $vgpr10_vgpr11
                                        ; implicit-def: $vgpr0
	s_branch .LBB5_121
.LBB5_119:
	v_add_u32_e32 v9, 0x101, v0
	v_lshlrev_b64 v[0:1], 2, v[10:11]
	v_add_co_u32_e32 v2, vcc, 4, v0
	v_addc_co_u32_e32 v3, vcc, 0, v1, vcc
	v_mov_b32_e32 v1, s41
	v_add_co_u32_e32 v0, vcc, s40, v2
	v_addc_co_u32_e32 v1, vcc, v1, v3, vcc
	v_mov_b32_e32 v4, s43
	v_add_co_u32_e32 v2, vcc, s42, v2
	s_mov_b32 s5, 0
	v_addc_co_u32_e32 v3, vcc, v4, v3, vcc
	v_pk_mov_b32 v[4:5], s[50:51], s[50:51] op_sel:[0,1]
.LBB5_120:                              ; =>This Inner Loop Header: Depth=1
	global_store_dword v[2:3], v9, off
	global_store_dword v[0:1], v8, off
	v_add_co_u32_e32 v0, vcc, 4, v0
	v_addc_co_u32_e32 v1, vcc, 0, v1, vcc
	s_add_u32 s4, s4, 1
	v_add_co_u32_e32 v2, vcc, 4, v2
	v_addc_co_u32_e32 v3, vcc, 0, v3, vcc
	s_addc_u32 s5, s5, 0
	v_cmp_lt_u64_e32 vcc, s[4:5], v[4:5]
	v_add_u32_e32 v9, 1, v9
	s_cbranch_vccnz .LBB5_120
.LBB5_121:
	s_or_b64 exec, exec, s[2:3]
	v_cmp_gt_i64_e64 s[4:5], s[48:49], 0
	s_mov_b64 s[2:3], 0
	s_and_b64 s[0:1], s[0:1], s[4:5]
	s_waitcnt lgkmcnt(0)
	s_barrier
	s_and_b64 exec, exec, s[0:1]
	s_cbranch_execz .LBB5_128
; %bb.122:
	v_mad_u64_u32 v[0:1], s[0:1], s33, v16, 0
	s_ashr_i32 s4, s33, 31
	v_mov_b32_e32 v2, v1
	v_mad_u64_u32 v[2:3], s[0:1], s4, v16, v[2:3]
	v_mov_b32_e32 v1, v2
	v_lshlrev_b64 v[0:1], 2, v[0:1]
	v_mov_b32_e32 v2, s41
	v_add_co_u32_e32 v4, vcc, s40, v0
	v_addc_co_u32_e32 v5, vcc, v2, v1, vcc
	v_cmp_lt_u64_e64 s[0:1], s[48:49], 8
	s_and_b64 vcc, exec, s[0:1]
	s_cbranch_vccnz .LBB5_125
; %bb.123:
	s_and_b32 s3, s49, 0x7fffffff
	s_and_b32 s2, s48, -8
	s_mov_b64 s[0:1], 0
	s_mov_b64 s[4:5], s[2:3]
.LBB5_124:                              ; =>This Inner Loop Header: Depth=1
	v_mov_b32_e32 v1, s1
	v_add_co_u32_e32 v2, vcc, s0, v6
	v_addc_co_u32_e32 v3, vcc, v7, v1, vcc
	flat_load_dword v8, v[2:3]
	v_add_co_u32_e32 v0, vcc, s0, v4
	v_addc_co_u32_e32 v1, vcc, v5, v1, vcc
	s_add_u32 s0, s0, 32
	s_addc_u32 s1, s1, 0
	s_add_u32 s4, s4, -8
	s_addc_u32 s5, s5, -1
	s_cmp_lg_u64 s[4:5], 0
	s_waitcnt vmcnt(0) lgkmcnt(0)
	v_div_scale_f32 v9, s[6:7], v41, v41, v8
	v_rcp_f32_e32 v11, v9
	v_div_scale_f32 v10, vcc, v8, v41, v8
	v_fma_f32 v12, -v9, v11, 1.0
	v_fmac_f32_e32 v11, v12, v11
	v_mul_f32_e32 v12, v10, v11
	v_fma_f32 v13, -v9, v12, v10
	v_fmac_f32_e32 v12, v13, v11
	v_fma_f32 v9, -v9, v12, v10
	v_div_fmas_f32 v9, v9, v11, v12
	v_div_fixup_f32 v8, v9, v41, v8
	global_store_dword v[0:1], v8, off
	flat_load_dword v8, v[2:3] offset:4
	s_waitcnt vmcnt(0) lgkmcnt(0)
	v_div_scale_f32 v9, s[6:7], v41, v41, v8
	v_rcp_f32_e32 v11, v9
	v_div_scale_f32 v10, vcc, v8, v41, v8
	v_fma_f32 v12, -v9, v11, 1.0
	v_fmac_f32_e32 v11, v12, v11
	v_mul_f32_e32 v12, v10, v11
	v_fma_f32 v13, -v9, v12, v10
	v_fmac_f32_e32 v12, v13, v11
	v_fma_f32 v9, -v9, v12, v10
	v_div_fmas_f32 v9, v9, v11, v12
	v_div_fixup_f32 v8, v9, v41, v8
	global_store_dword v[0:1], v8, off offset:4
	flat_load_dword v8, v[2:3] offset:8
	s_waitcnt vmcnt(0) lgkmcnt(0)
	v_div_scale_f32 v9, s[6:7], v41, v41, v8
	v_rcp_f32_e32 v11, v9
	v_div_scale_f32 v10, vcc, v8, v41, v8
	v_fma_f32 v12, -v9, v11, 1.0
	v_fmac_f32_e32 v11, v12, v11
	v_mul_f32_e32 v12, v10, v11
	v_fma_f32 v13, -v9, v12, v10
	v_fmac_f32_e32 v12, v13, v11
	v_fma_f32 v9, -v9, v12, v10
	v_div_fmas_f32 v9, v9, v11, v12
	v_div_fixup_f32 v8, v9, v41, v8
	global_store_dword v[0:1], v8, off offset:8
	;; [unrolled: 14-line block ×7, first 2 shown]
	s_cbranch_scc1 .LBB5_124
.LBB5_125:
	s_and_b32 s0, s48, 7
	s_mov_b32 s1, 0
	s_cmp_eq_u64 s[0:1], 0
	s_cbranch_scc1 .LBB5_128
; %bb.126:
	s_mov_b64 s[4:5], s[0:1]
.LBB5_127:                              ; =>This Inner Loop Header: Depth=1
	s_lshl_b64 s[6:7], s[2:3], 2
	v_mov_b32_e32 v2, s7
	v_add_co_u32_e32 v0, vcc, s6, v6
	v_addc_co_u32_e32 v1, vcc, v7, v2, vcc
	flat_load_dword v3, v[0:1]
	v_add_co_u32_e32 v0, vcc, s6, v4
	v_addc_co_u32_e32 v1, vcc, v5, v2, vcc
	s_add_i32 s0, s2, 1
	s_add_u32 s4, s4, -1
	s_addc_u32 s5, s5, -1
	s_mov_b64 s[2:3], s[0:1]
	s_cmp_lg_u64 s[4:5], 0
	s_waitcnt vmcnt(0) lgkmcnt(0)
	v_div_scale_f32 v2, s[6:7], v41, v41, v3
	v_rcp_f32_e32 v8, v2
	v_div_scale_f32 v9, vcc, v3, v41, v3
	v_fma_f32 v10, -v2, v8, 1.0
	v_fmac_f32_e32 v8, v10, v8
	v_mul_f32_e32 v10, v9, v8
	v_fma_f32 v11, -v2, v10, v9
	v_fmac_f32_e32 v10, v11, v8
	v_fma_f32 v2, -v2, v10, v9
	v_div_fmas_f32 v2, v2, v8, v10
	v_div_fixup_f32 v2, v2, v41, v3
	global_store_dword v[0:1], v2, off
	s_cbranch_scc1 .LBB5_127
.LBB5_128:
	s_endpgm
	.section	.rodata,"a",@progbits
	.p2align	6, 0x0
	.amdhsa_kernel _Z21moe_fused_gate_kernelIDF16_Li16ELi256ELi16ELi1EEvPvS0_PfPilllldi
		.amdhsa_group_segment_fixed_size 0
		.amdhsa_private_segment_fixed_size 0
		.amdhsa_kernarg_size 76
		.amdhsa_user_sgpr_count 6
		.amdhsa_user_sgpr_private_segment_buffer 1
		.amdhsa_user_sgpr_dispatch_ptr 0
		.amdhsa_user_sgpr_queue_ptr 0
		.amdhsa_user_sgpr_kernarg_segment_ptr 1
		.amdhsa_user_sgpr_dispatch_id 0
		.amdhsa_user_sgpr_flat_scratch_init 0
		.amdhsa_user_sgpr_kernarg_preload_length 0
		.amdhsa_user_sgpr_kernarg_preload_offset 0
		.amdhsa_user_sgpr_private_segment_size 0
		.amdhsa_uses_dynamic_stack 0
		.amdhsa_system_sgpr_private_segment_wavefront_offset 0
		.amdhsa_system_sgpr_workgroup_id_x 1
		.amdhsa_system_sgpr_workgroup_id_y 0
		.amdhsa_system_sgpr_workgroup_id_z 0
		.amdhsa_system_sgpr_workgroup_info 0
		.amdhsa_system_vgpr_workitem_id 1
		.amdhsa_next_free_vgpr 50
		.amdhsa_next_free_sgpr 53
		.amdhsa_accum_offset 52
		.amdhsa_reserve_vcc 1
		.amdhsa_reserve_flat_scratch 0
		.amdhsa_float_round_mode_32 0
		.amdhsa_float_round_mode_16_64 0
		.amdhsa_float_denorm_mode_32 3
		.amdhsa_float_denorm_mode_16_64 3
		.amdhsa_dx10_clamp 1
		.amdhsa_ieee_mode 1
		.amdhsa_fp16_overflow 0
		.amdhsa_tg_split 0
		.amdhsa_exception_fp_ieee_invalid_op 0
		.amdhsa_exception_fp_denorm_src 0
		.amdhsa_exception_fp_ieee_div_zero 0
		.amdhsa_exception_fp_ieee_overflow 0
		.amdhsa_exception_fp_ieee_underflow 0
		.amdhsa_exception_fp_ieee_inexact 0
		.amdhsa_exception_int_div_zero 0
	.end_amdhsa_kernel
	.section	.text._Z21moe_fused_gate_kernelIDF16_Li16ELi256ELi16ELi1EEvPvS0_PfPilllldi,"axG",@progbits,_Z21moe_fused_gate_kernelIDF16_Li16ELi256ELi16ELi1EEvPvS0_PfPilllldi,comdat
.Lfunc_end5:
	.size	_Z21moe_fused_gate_kernelIDF16_Li16ELi256ELi16ELi1EEvPvS0_PfPilllldi, .Lfunc_end5-_Z21moe_fused_gate_kernelIDF16_Li16ELi256ELi16ELi1EEvPvS0_PfPilllldi
                                        ; -- End function
	.section	.AMDGPU.csdata,"",@progbits
; Kernel info:
; codeLenInByte = 7728
; NumSgprs: 57
; NumVgprs: 50
; NumAgprs: 0
; TotalNumVgprs: 50
; ScratchSize: 0
; MemoryBound: 0
; FloatMode: 240
; IeeeMode: 1
; LDSByteSize: 0 bytes/workgroup (compile time only)
; SGPRBlocks: 7
; VGPRBlocks: 6
; NumSGPRsForWavesPerEU: 57
; NumVGPRsForWavesPerEU: 50
; AccumOffset: 52
; Occupancy: 8
; WaveLimiterHint : 0
; COMPUTE_PGM_RSRC2:SCRATCH_EN: 0
; COMPUTE_PGM_RSRC2:USER_SGPR: 6
; COMPUTE_PGM_RSRC2:TRAP_HANDLER: 0
; COMPUTE_PGM_RSRC2:TGID_X_EN: 1
; COMPUTE_PGM_RSRC2:TGID_Y_EN: 0
; COMPUTE_PGM_RSRC2:TGID_Z_EN: 0
; COMPUTE_PGM_RSRC2:TIDIG_COMP_CNT: 1
; COMPUTE_PGM_RSRC3_GFX90A:ACCUM_OFFSET: 12
; COMPUTE_PGM_RSRC3_GFX90A:TG_SPLIT: 0
	.section	.text._Z21moe_fused_gate_kernelIfLi16ELi256ELi16ELi1EEvPvS0_PfPilllldi,"axG",@progbits,_Z21moe_fused_gate_kernelIfLi16ELi256ELi16ELi1EEvPvS0_PfPilllldi,comdat
	.protected	_Z21moe_fused_gate_kernelIfLi16ELi256ELi16ELi1EEvPvS0_PfPilllldi ; -- Begin function _Z21moe_fused_gate_kernelIfLi16ELi256ELi16ELi1EEvPvS0_PfPilllldi
	.globl	_Z21moe_fused_gate_kernelIfLi16ELi256ELi16ELi1EEvPvS0_PfPilllldi
	.p2align	8
	.type	_Z21moe_fused_gate_kernelIfLi16ELi256ELi16ELi1EEvPvS0_PfPilllldi,@function
_Z21moe_fused_gate_kernelIfLi16ELi256ELi16ELi1EEvPvS0_PfPilllldi: ; @_Z21moe_fused_gate_kernelIfLi16ELi256ELi16ELi1EEvPvS0_PfPilllldi
; %bb.0:
	s_load_dwordx16 s[36:51], s[4:5], 0x0
	v_and_b32_e32 v1, 0x3ff, v0
	v_bfe_u32 v0, v0, 10, 10
	v_add_u32_e32 v0, s6, v0
	v_lshrrev_b32_e32 v37, 4, v1
	v_mov_b32_e32 v35, 0
	v_lshl_add_u32 v32, v0, 2, v37
	v_mov_b32_e32 v33, v35
	s_waitcnt lgkmcnt(0)
	v_cmp_gt_i64_e32 vcc, s[44:45], v[32:33]
	s_and_saveexec_b64 s[0:1], vcc
	s_cbranch_execz .LBB6_128
; %bb.1:
	v_lshlrev_b64 v[2:3], 10, v[32:33]
	v_mov_b32_e32 v0, s37
	v_add_co_u32_e32 v2, vcc, s36, v2
	v_and_b32_e32 v34, 15, v1
	v_addc_co_u32_e32 v0, vcc, v0, v3, vcc
	v_lshlrev_b32_e32 v36, 6, v34
	v_add_co_u32_e32 v38, vcc, v2, v36
	v_addc_co_u32_e32 v39, vcc, 0, v0, vcc
	global_load_dwordx4 v[16:19], v[38:39], off offset:48
	global_load_dwordx4 v[20:23], v[38:39], off offset:32
	;; [unrolled: 1-line block ×3, first 2 shown]
	global_load_dwordx4 v[28:31], v[38:39], off
	global_load_dwordx4 v[0:3], v36, s[38:39] offset:48
	global_load_dwordx4 v[4:7], v36, s[38:39] offset:32
	;; [unrolled: 1-line block ×3, first 2 shown]
	global_load_dwordx4 v[12:15], v36, s[38:39]
	s_waitcnt vmcnt(4)
	v_cmp_o_f32_e32 vcc, v28, v28
	s_and_saveexec_b64 s[0:1], vcc
	s_cbranch_execz .LBB6_3
; %bb.2:
	v_mul_f32_e32 v35, 0xbfb8aa3b, v28
	s_mov_b32 s2, 0xbfb8aa3b
	v_rndne_f32_e32 v36, v35
	v_sub_f32_e32 v38, v35, v36
	v_fma_f32 v35, v28, s2, -v35
	v_fmac_f32_e32 v35, 0xb2a5705f, v28
	v_add_f32_e32 v35, v38, v35
	v_exp_f32_e32 v35, v35
	v_cvt_i32_f32_e32 v36, v36
	s_mov_b32 s2, 0x42ce8ed0
	v_cmp_nlt_f32_e32 vcc, s2, v28
	s_mov_b32 s2, 0xc2b17218
	v_ldexp_f32 v35, v35, v36
	v_cndmask_b32_e32 v35, 0, v35, vcc
	v_mov_b32_e32 v36, 0x7f800000
	v_cmp_ngt_f32_e32 vcc, s2, v28
	v_cndmask_b32_e32 v28, v36, v35, vcc
	v_add_f32_e32 v28, 1.0, v28
	v_div_scale_f32 v35, s[2:3], v28, v28, 1.0
	v_rcp_f32_e32 v36, v35
	v_fma_f32 v38, -v35, v36, 1.0
	v_fmac_f32_e32 v36, v38, v36
	v_div_scale_f32 v38, vcc, 1.0, v28, 1.0
	v_mul_f32_e32 v39, v38, v36
	v_fma_f32 v40, -v35, v39, v38
	v_fmac_f32_e32 v39, v40, v36
	v_fma_f32 v35, -v35, v39, v38
	v_div_fmas_f32 v35, v35, v36, v39
	v_div_fixup_f32 v35, v35, v28, 1.0
.LBB6_3:
	s_or_b64 exec, exec, s[0:1]
	v_cmp_o_f32_e32 vcc, v29, v29
	v_mov_b32_e32 v28, 0
	v_mov_b32_e32 v36, 0
	s_and_saveexec_b64 s[0:1], vcc
	s_cbranch_execz .LBB6_5
; %bb.4:
	v_mul_f32_e32 v36, 0xbfb8aa3b, v29
	s_mov_b32 s2, 0xbfb8aa3b
	v_rndne_f32_e32 v38, v36
	v_sub_f32_e32 v39, v36, v38
	v_fma_f32 v36, v29, s2, -v36
	v_fmac_f32_e32 v36, 0xb2a5705f, v29
	v_add_f32_e32 v36, v39, v36
	v_exp_f32_e32 v36, v36
	v_cvt_i32_f32_e32 v38, v38
	s_mov_b32 s2, 0x42ce8ed0
	v_cmp_nlt_f32_e32 vcc, s2, v29
	s_mov_b32 s2, 0xc2b17218
	v_ldexp_f32 v36, v36, v38
	v_cndmask_b32_e32 v36, 0, v36, vcc
	v_mov_b32_e32 v38, 0x7f800000
	v_cmp_ngt_f32_e32 vcc, s2, v29
	v_cndmask_b32_e32 v29, v38, v36, vcc
	v_add_f32_e32 v29, 1.0, v29
	v_div_scale_f32 v36, s[2:3], v29, v29, 1.0
	v_rcp_f32_e32 v38, v36
	v_fma_f32 v39, -v36, v38, 1.0
	v_fmac_f32_e32 v38, v39, v38
	v_div_scale_f32 v39, vcc, 1.0, v29, 1.0
	v_mul_f32_e32 v40, v39, v38
	v_fma_f32 v41, -v36, v40, v39
	v_fmac_f32_e32 v40, v41, v38
	v_fma_f32 v36, -v36, v40, v39
	v_div_fmas_f32 v36, v36, v38, v40
	v_div_fixup_f32 v36, v36, v29, 1.0
.LBB6_5:
	s_or_b64 exec, exec, s[0:1]
	v_cmp_o_f32_e32 vcc, v30, v30
	s_and_saveexec_b64 s[0:1], vcc
	s_cbranch_execz .LBB6_7
; %bb.6:
	v_mul_f32_e32 v28, 0xbfb8aa3b, v30
	s_mov_b32 s2, 0xbfb8aa3b
	v_rndne_f32_e32 v29, v28
	v_sub_f32_e32 v38, v28, v29
	v_fma_f32 v28, v30, s2, -v28
	v_fmac_f32_e32 v28, 0xb2a5705f, v30
	v_add_f32_e32 v28, v38, v28
	v_exp_f32_e32 v28, v28
	v_cvt_i32_f32_e32 v29, v29
	s_mov_b32 s2, 0x42ce8ed0
	v_cmp_nlt_f32_e32 vcc, s2, v30
	s_mov_b32 s2, 0xc2b17218
	v_ldexp_f32 v28, v28, v29
	v_cndmask_b32_e32 v28, 0, v28, vcc
	v_mov_b32_e32 v29, 0x7f800000
	v_cmp_ngt_f32_e32 vcc, s2, v30
	v_cndmask_b32_e32 v28, v29, v28, vcc
	v_add_f32_e32 v28, 1.0, v28
	v_div_scale_f32 v29, s[2:3], v28, v28, 1.0
	v_rcp_f32_e32 v30, v29
	v_fma_f32 v38, -v29, v30, 1.0
	v_fmac_f32_e32 v30, v38, v30
	v_div_scale_f32 v38, vcc, 1.0, v28, 1.0
	v_mul_f32_e32 v39, v38, v30
	v_fma_f32 v40, -v29, v39, v38
	v_fmac_f32_e32 v39, v40, v30
	v_fma_f32 v29, -v29, v39, v38
	v_div_fmas_f32 v29, v29, v30, v39
	v_div_fixup_f32 v28, v29, v28, 1.0
.LBB6_7:
	s_or_b64 exec, exec, s[0:1]
	v_cmp_o_f32_e32 vcc, v31, v31
	v_mov_b32_e32 v29, 0
	v_mov_b32_e32 v30, 0
	s_and_saveexec_b64 s[0:1], vcc
	s_cbranch_execz .LBB6_9
; %bb.8:
	v_mul_f32_e32 v30, 0xbfb8aa3b, v31
	s_mov_b32 s2, 0xbfb8aa3b
	v_rndne_f32_e32 v38, v30
	v_sub_f32_e32 v39, v30, v38
	v_fma_f32 v30, v31, s2, -v30
	v_fmac_f32_e32 v30, 0xb2a5705f, v31
	v_add_f32_e32 v30, v39, v30
	v_exp_f32_e32 v30, v30
	v_cvt_i32_f32_e32 v38, v38
	s_mov_b32 s2, 0x42ce8ed0
	v_cmp_nlt_f32_e32 vcc, s2, v31
	s_mov_b32 s2, 0xc2b17218
	v_ldexp_f32 v30, v30, v38
	v_cndmask_b32_e32 v30, 0, v30, vcc
	v_mov_b32_e32 v38, 0x7f800000
	v_cmp_ngt_f32_e32 vcc, s2, v31
	v_cndmask_b32_e32 v30, v38, v30, vcc
	v_add_f32_e32 v30, 1.0, v30
	v_div_scale_f32 v31, s[2:3], v30, v30, 1.0
	v_rcp_f32_e32 v38, v31
	v_fma_f32 v39, -v31, v38, 1.0
	v_fmac_f32_e32 v38, v39, v38
	v_div_scale_f32 v39, vcc, 1.0, v30, 1.0
	v_mul_f32_e32 v40, v39, v38
	v_fma_f32 v41, -v31, v40, v39
	v_fmac_f32_e32 v40, v41, v38
	v_fma_f32 v31, -v31, v40, v39
	v_div_fmas_f32 v31, v31, v38, v40
	v_div_fixup_f32 v30, v31, v30, 1.0
.LBB6_9:
	s_or_b64 exec, exec, s[0:1]
	v_cmp_o_f32_e32 vcc, v24, v24
	s_and_saveexec_b64 s[0:1], vcc
	s_cbranch_execz .LBB6_11
; %bb.10:
	v_mul_f32_e32 v29, 0xbfb8aa3b, v24
	s_mov_b32 s2, 0xbfb8aa3b
	v_rndne_f32_e32 v31, v29
	v_sub_f32_e32 v38, v29, v31
	v_fma_f32 v29, v24, s2, -v29
	v_fmac_f32_e32 v29, 0xb2a5705f, v24
	v_add_f32_e32 v29, v38, v29
	v_exp_f32_e32 v29, v29
	v_cvt_i32_f32_e32 v31, v31
	s_mov_b32 s2, 0x42ce8ed0
	v_cmp_nlt_f32_e32 vcc, s2, v24
	s_mov_b32 s2, 0xc2b17218
	v_ldexp_f32 v29, v29, v31
	v_cndmask_b32_e32 v29, 0, v29, vcc
	v_mov_b32_e32 v31, 0x7f800000
	v_cmp_ngt_f32_e32 vcc, s2, v24
	v_cndmask_b32_e32 v24, v31, v29, vcc
	v_add_f32_e32 v24, 1.0, v24
	v_div_scale_f32 v29, s[2:3], v24, v24, 1.0
	v_rcp_f32_e32 v31, v29
	v_fma_f32 v38, -v29, v31, 1.0
	v_fmac_f32_e32 v31, v38, v31
	v_div_scale_f32 v38, vcc, 1.0, v24, 1.0
	v_mul_f32_e32 v39, v38, v31
	v_fma_f32 v40, -v29, v39, v38
	v_fmac_f32_e32 v39, v40, v31
	v_fma_f32 v29, -v29, v39, v38
	v_div_fmas_f32 v29, v29, v31, v39
	v_div_fixup_f32 v29, v29, v24, 1.0
.LBB6_11:
	s_or_b64 exec, exec, s[0:1]
	v_cmp_o_f32_e32 vcc, v25, v25
	v_mov_b32_e32 v24, 0
	v_mov_b32_e32 v31, 0
	s_and_saveexec_b64 s[0:1], vcc
	s_cbranch_execz .LBB6_13
; %bb.12:
	v_mul_f32_e32 v31, 0xbfb8aa3b, v25
	s_mov_b32 s2, 0xbfb8aa3b
	v_rndne_f32_e32 v38, v31
	v_sub_f32_e32 v39, v31, v38
	v_fma_f32 v31, v25, s2, -v31
	v_fmac_f32_e32 v31, 0xb2a5705f, v25
	v_add_f32_e32 v31, v39, v31
	v_exp_f32_e32 v31, v31
	v_cvt_i32_f32_e32 v38, v38
	s_mov_b32 s2, 0x42ce8ed0
	v_cmp_nlt_f32_e32 vcc, s2, v25
	s_mov_b32 s2, 0xc2b17218
	v_ldexp_f32 v31, v31, v38
	v_cndmask_b32_e32 v31, 0, v31, vcc
	v_mov_b32_e32 v38, 0x7f800000
	v_cmp_ngt_f32_e32 vcc, s2, v25
	v_cndmask_b32_e32 v25, v38, v31, vcc
	v_add_f32_e32 v25, 1.0, v25
	v_div_scale_f32 v31, s[2:3], v25, v25, 1.0
	v_rcp_f32_e32 v38, v31
	v_fma_f32 v39, -v31, v38, 1.0
	v_fmac_f32_e32 v38, v39, v38
	v_div_scale_f32 v39, vcc, 1.0, v25, 1.0
	v_mul_f32_e32 v40, v39, v38
	v_fma_f32 v41, -v31, v40, v39
	v_fmac_f32_e32 v40, v41, v38
	v_fma_f32 v31, -v31, v40, v39
	v_div_fmas_f32 v31, v31, v38, v40
	v_div_fixup_f32 v31, v31, v25, 1.0
.LBB6_13:
	s_or_b64 exec, exec, s[0:1]
	v_cmp_o_f32_e32 vcc, v26, v26
	s_and_saveexec_b64 s[0:1], vcc
	s_cbranch_execz .LBB6_15
; %bb.14:
	v_mul_f32_e32 v24, 0xbfb8aa3b, v26
	s_mov_b32 s2, 0xbfb8aa3b
	v_rndne_f32_e32 v25, v24
	v_sub_f32_e32 v38, v24, v25
	v_fma_f32 v24, v26, s2, -v24
	v_fmac_f32_e32 v24, 0xb2a5705f, v26
	v_add_f32_e32 v24, v38, v24
	v_exp_f32_e32 v24, v24
	v_cvt_i32_f32_e32 v25, v25
	s_mov_b32 s2, 0x42ce8ed0
	v_cmp_nlt_f32_e32 vcc, s2, v26
	s_mov_b32 s2, 0xc2b17218
	v_ldexp_f32 v24, v24, v25
	v_cndmask_b32_e32 v24, 0, v24, vcc
	v_mov_b32_e32 v25, 0x7f800000
	v_cmp_ngt_f32_e32 vcc, s2, v26
	v_cndmask_b32_e32 v24, v25, v24, vcc
	v_add_f32_e32 v24, 1.0, v24
	v_div_scale_f32 v25, s[2:3], v24, v24, 1.0
	v_rcp_f32_e32 v26, v25
	v_fma_f32 v38, -v25, v26, 1.0
	v_fmac_f32_e32 v26, v38, v26
	v_div_scale_f32 v38, vcc, 1.0, v24, 1.0
	v_mul_f32_e32 v39, v38, v26
	v_fma_f32 v40, -v25, v39, v38
	v_fmac_f32_e32 v39, v40, v26
	v_fma_f32 v25, -v25, v39, v38
	v_div_fmas_f32 v25, v25, v26, v39
	v_div_fixup_f32 v24, v25, v24, 1.0
.LBB6_15:
	s_or_b64 exec, exec, s[0:1]
	v_cmp_o_f32_e32 vcc, v27, v27
	v_mov_b32_e32 v25, 0
	v_mov_b32_e32 v26, 0
	s_and_saveexec_b64 s[0:1], vcc
	s_cbranch_execz .LBB6_17
; %bb.16:
	v_mul_f32_e32 v26, 0xbfb8aa3b, v27
	s_mov_b32 s2, 0xbfb8aa3b
	v_rndne_f32_e32 v38, v26
	v_sub_f32_e32 v39, v26, v38
	v_fma_f32 v26, v27, s2, -v26
	v_fmac_f32_e32 v26, 0xb2a5705f, v27
	v_add_f32_e32 v26, v39, v26
	v_exp_f32_e32 v26, v26
	v_cvt_i32_f32_e32 v38, v38
	s_mov_b32 s2, 0x42ce8ed0
	v_cmp_nlt_f32_e32 vcc, s2, v27
	s_mov_b32 s2, 0xc2b17218
	v_ldexp_f32 v26, v26, v38
	v_cndmask_b32_e32 v26, 0, v26, vcc
	v_mov_b32_e32 v38, 0x7f800000
	v_cmp_ngt_f32_e32 vcc, s2, v27
	v_cndmask_b32_e32 v26, v38, v26, vcc
	v_add_f32_e32 v26, 1.0, v26
	v_div_scale_f32 v27, s[2:3], v26, v26, 1.0
	v_rcp_f32_e32 v38, v27
	v_fma_f32 v39, -v27, v38, 1.0
	v_fmac_f32_e32 v38, v39, v38
	v_div_scale_f32 v39, vcc, 1.0, v26, 1.0
	v_mul_f32_e32 v40, v39, v38
	v_fma_f32 v41, -v27, v40, v39
	v_fmac_f32_e32 v40, v41, v38
	v_fma_f32 v27, -v27, v40, v39
	v_div_fmas_f32 v27, v27, v38, v40
	v_div_fixup_f32 v26, v27, v26, 1.0
.LBB6_17:
	s_or_b64 exec, exec, s[0:1]
	v_cmp_o_f32_e32 vcc, v20, v20
	s_and_saveexec_b64 s[0:1], vcc
	s_cbranch_execz .LBB6_19
; %bb.18:
	v_mul_f32_e32 v25, 0xbfb8aa3b, v20
	s_mov_b32 s2, 0xbfb8aa3b
	v_rndne_f32_e32 v27, v25
	v_sub_f32_e32 v38, v25, v27
	v_fma_f32 v25, v20, s2, -v25
	v_fmac_f32_e32 v25, 0xb2a5705f, v20
	v_add_f32_e32 v25, v38, v25
	v_exp_f32_e32 v25, v25
	v_cvt_i32_f32_e32 v27, v27
	s_mov_b32 s2, 0x42ce8ed0
	v_cmp_nlt_f32_e32 vcc, s2, v20
	s_mov_b32 s2, 0xc2b17218
	v_ldexp_f32 v25, v25, v27
	v_cndmask_b32_e32 v25, 0, v25, vcc
	v_mov_b32_e32 v27, 0x7f800000
	v_cmp_ngt_f32_e32 vcc, s2, v20
	v_cndmask_b32_e32 v20, v27, v25, vcc
	v_add_f32_e32 v20, 1.0, v20
	v_div_scale_f32 v25, s[2:3], v20, v20, 1.0
	v_rcp_f32_e32 v27, v25
	v_fma_f32 v38, -v25, v27, 1.0
	v_fmac_f32_e32 v27, v38, v27
	v_div_scale_f32 v38, vcc, 1.0, v20, 1.0
	v_mul_f32_e32 v39, v38, v27
	v_fma_f32 v40, -v25, v39, v38
	v_fmac_f32_e32 v39, v40, v27
	v_fma_f32 v25, -v25, v39, v38
	v_div_fmas_f32 v25, v25, v27, v39
	v_div_fixup_f32 v25, v25, v20, 1.0
.LBB6_19:
	s_or_b64 exec, exec, s[0:1]
	v_cmp_o_f32_e32 vcc, v21, v21
	v_mov_b32_e32 v20, 0
	v_mov_b32_e32 v27, 0
	s_and_saveexec_b64 s[0:1], vcc
	s_cbranch_execz .LBB6_21
; %bb.20:
	v_mul_f32_e32 v27, 0xbfb8aa3b, v21
	s_mov_b32 s2, 0xbfb8aa3b
	v_rndne_f32_e32 v38, v27
	v_sub_f32_e32 v39, v27, v38
	v_fma_f32 v27, v21, s2, -v27
	v_fmac_f32_e32 v27, 0xb2a5705f, v21
	v_add_f32_e32 v27, v39, v27
	v_exp_f32_e32 v27, v27
	v_cvt_i32_f32_e32 v38, v38
	s_mov_b32 s2, 0x42ce8ed0
	v_cmp_nlt_f32_e32 vcc, s2, v21
	s_mov_b32 s2, 0xc2b17218
	v_ldexp_f32 v27, v27, v38
	v_cndmask_b32_e32 v27, 0, v27, vcc
	v_mov_b32_e32 v38, 0x7f800000
	v_cmp_ngt_f32_e32 vcc, s2, v21
	v_cndmask_b32_e32 v21, v38, v27, vcc
	v_add_f32_e32 v21, 1.0, v21
	v_div_scale_f32 v27, s[2:3], v21, v21, 1.0
	v_rcp_f32_e32 v38, v27
	v_fma_f32 v39, -v27, v38, 1.0
	v_fmac_f32_e32 v38, v39, v38
	v_div_scale_f32 v39, vcc, 1.0, v21, 1.0
	v_mul_f32_e32 v40, v39, v38
	v_fma_f32 v41, -v27, v40, v39
	v_fmac_f32_e32 v40, v41, v38
	v_fma_f32 v27, -v27, v40, v39
	v_div_fmas_f32 v27, v27, v38, v40
	v_div_fixup_f32 v27, v27, v21, 1.0
.LBB6_21:
	s_or_b64 exec, exec, s[0:1]
	v_cmp_o_f32_e32 vcc, v22, v22
	s_and_saveexec_b64 s[0:1], vcc
	s_cbranch_execz .LBB6_23
; %bb.22:
	v_mul_f32_e32 v20, 0xbfb8aa3b, v22
	s_mov_b32 s2, 0xbfb8aa3b
	v_rndne_f32_e32 v21, v20
	v_sub_f32_e32 v38, v20, v21
	v_fma_f32 v20, v22, s2, -v20
	v_fmac_f32_e32 v20, 0xb2a5705f, v22
	v_add_f32_e32 v20, v38, v20
	v_exp_f32_e32 v20, v20
	v_cvt_i32_f32_e32 v21, v21
	s_mov_b32 s2, 0x42ce8ed0
	v_cmp_nlt_f32_e32 vcc, s2, v22
	s_mov_b32 s2, 0xc2b17218
	v_ldexp_f32 v20, v20, v21
	v_cndmask_b32_e32 v20, 0, v20, vcc
	v_mov_b32_e32 v21, 0x7f800000
	v_cmp_ngt_f32_e32 vcc, s2, v22
	v_cndmask_b32_e32 v20, v21, v20, vcc
	v_add_f32_e32 v20, 1.0, v20
	v_div_scale_f32 v21, s[2:3], v20, v20, 1.0
	v_rcp_f32_e32 v22, v21
	v_fma_f32 v38, -v21, v22, 1.0
	v_fmac_f32_e32 v22, v38, v22
	v_div_scale_f32 v38, vcc, 1.0, v20, 1.0
	v_mul_f32_e32 v39, v38, v22
	v_fma_f32 v40, -v21, v39, v38
	v_fmac_f32_e32 v39, v40, v22
	v_fma_f32 v21, -v21, v39, v38
	v_div_fmas_f32 v21, v21, v22, v39
	v_div_fixup_f32 v20, v21, v20, 1.0
.LBB6_23:
	s_or_b64 exec, exec, s[0:1]
	v_cmp_o_f32_e32 vcc, v23, v23
	v_mov_b32_e32 v21, 0
	v_mov_b32_e32 v22, 0
	s_and_saveexec_b64 s[0:1], vcc
	s_cbranch_execz .LBB6_25
; %bb.24:
	v_mul_f32_e32 v22, 0xbfb8aa3b, v23
	s_mov_b32 s2, 0xbfb8aa3b
	v_rndne_f32_e32 v38, v22
	v_sub_f32_e32 v39, v22, v38
	v_fma_f32 v22, v23, s2, -v22
	v_fmac_f32_e32 v22, 0xb2a5705f, v23
	v_add_f32_e32 v22, v39, v22
	v_exp_f32_e32 v22, v22
	v_cvt_i32_f32_e32 v38, v38
	s_mov_b32 s2, 0x42ce8ed0
	v_cmp_nlt_f32_e32 vcc, s2, v23
	s_mov_b32 s2, 0xc2b17218
	v_ldexp_f32 v22, v22, v38
	v_cndmask_b32_e32 v22, 0, v22, vcc
	v_mov_b32_e32 v38, 0x7f800000
	v_cmp_ngt_f32_e32 vcc, s2, v23
	v_cndmask_b32_e32 v22, v38, v22, vcc
	v_add_f32_e32 v22, 1.0, v22
	v_div_scale_f32 v23, s[2:3], v22, v22, 1.0
	v_rcp_f32_e32 v38, v23
	v_fma_f32 v39, -v23, v38, 1.0
	v_fmac_f32_e32 v38, v39, v38
	v_div_scale_f32 v39, vcc, 1.0, v22, 1.0
	v_mul_f32_e32 v40, v39, v38
	v_fma_f32 v41, -v23, v40, v39
	v_fmac_f32_e32 v40, v41, v38
	v_fma_f32 v23, -v23, v40, v39
	v_div_fmas_f32 v23, v23, v38, v40
	v_div_fixup_f32 v22, v23, v22, 1.0
.LBB6_25:
	s_or_b64 exec, exec, s[0:1]
	v_cmp_o_f32_e32 vcc, v16, v16
	s_and_saveexec_b64 s[0:1], vcc
	s_cbranch_execz .LBB6_27
; %bb.26:
	v_mul_f32_e32 v21, 0xbfb8aa3b, v16
	s_mov_b32 s2, 0xbfb8aa3b
	v_rndne_f32_e32 v23, v21
	v_sub_f32_e32 v38, v21, v23
	v_fma_f32 v21, v16, s2, -v21
	v_fmac_f32_e32 v21, 0xb2a5705f, v16
	v_add_f32_e32 v21, v38, v21
	v_exp_f32_e32 v21, v21
	v_cvt_i32_f32_e32 v23, v23
	s_mov_b32 s2, 0x42ce8ed0
	v_cmp_nlt_f32_e32 vcc, s2, v16
	s_mov_b32 s2, 0xc2b17218
	v_ldexp_f32 v21, v21, v23
	v_cndmask_b32_e32 v21, 0, v21, vcc
	v_mov_b32_e32 v23, 0x7f800000
	v_cmp_ngt_f32_e32 vcc, s2, v16
	v_cndmask_b32_e32 v16, v23, v21, vcc
	v_add_f32_e32 v16, 1.0, v16
	v_div_scale_f32 v21, s[2:3], v16, v16, 1.0
	v_rcp_f32_e32 v23, v21
	v_fma_f32 v38, -v21, v23, 1.0
	v_fmac_f32_e32 v23, v38, v23
	v_div_scale_f32 v38, vcc, 1.0, v16, 1.0
	v_mul_f32_e32 v39, v38, v23
	v_fma_f32 v40, -v21, v39, v38
	v_fmac_f32_e32 v39, v40, v23
	v_fma_f32 v21, -v21, v39, v38
	v_div_fmas_f32 v21, v21, v23, v39
	v_div_fixup_f32 v21, v21, v16, 1.0
.LBB6_27:
	s_or_b64 exec, exec, s[0:1]
	v_cmp_o_f32_e32 vcc, v17, v17
	v_mov_b32_e32 v16, 0
	v_mov_b32_e32 v23, 0
	s_and_saveexec_b64 s[0:1], vcc
	s_cbranch_execz .LBB6_29
; %bb.28:
	v_mul_f32_e32 v23, 0xbfb8aa3b, v17
	s_mov_b32 s2, 0xbfb8aa3b
	v_rndne_f32_e32 v38, v23
	v_sub_f32_e32 v39, v23, v38
	v_fma_f32 v23, v17, s2, -v23
	v_fmac_f32_e32 v23, 0xb2a5705f, v17
	v_add_f32_e32 v23, v39, v23
	v_exp_f32_e32 v23, v23
	v_cvt_i32_f32_e32 v38, v38
	s_mov_b32 s2, 0x42ce8ed0
	v_cmp_nlt_f32_e32 vcc, s2, v17
	s_mov_b32 s2, 0xc2b17218
	v_ldexp_f32 v23, v23, v38
	v_cndmask_b32_e32 v23, 0, v23, vcc
	v_mov_b32_e32 v38, 0x7f800000
	v_cmp_ngt_f32_e32 vcc, s2, v17
	v_cndmask_b32_e32 v17, v38, v23, vcc
	v_add_f32_e32 v17, 1.0, v17
	v_div_scale_f32 v23, s[2:3], v17, v17, 1.0
	v_rcp_f32_e32 v38, v23
	v_fma_f32 v39, -v23, v38, 1.0
	v_fmac_f32_e32 v38, v39, v38
	v_div_scale_f32 v39, vcc, 1.0, v17, 1.0
	v_mul_f32_e32 v40, v39, v38
	v_fma_f32 v41, -v23, v40, v39
	v_fmac_f32_e32 v40, v41, v38
	v_fma_f32 v23, -v23, v40, v39
	v_div_fmas_f32 v23, v23, v38, v40
	v_div_fixup_f32 v23, v23, v17, 1.0
.LBB6_29:
	s_or_b64 exec, exec, s[0:1]
	v_cmp_o_f32_e32 vcc, v18, v18
	s_and_saveexec_b64 s[0:1], vcc
	s_cbranch_execz .LBB6_31
; %bb.30:
	v_mul_f32_e32 v16, 0xbfb8aa3b, v18
	s_mov_b32 s2, 0xbfb8aa3b
	v_rndne_f32_e32 v17, v16
	v_sub_f32_e32 v38, v16, v17
	v_fma_f32 v16, v18, s2, -v16
	v_fmac_f32_e32 v16, 0xb2a5705f, v18
	v_add_f32_e32 v16, v38, v16
	v_exp_f32_e32 v16, v16
	v_cvt_i32_f32_e32 v17, v17
	s_mov_b32 s2, 0x42ce8ed0
	v_cmp_nlt_f32_e32 vcc, s2, v18
	s_mov_b32 s2, 0xc2b17218
	v_ldexp_f32 v16, v16, v17
	v_cndmask_b32_e32 v16, 0, v16, vcc
	v_mov_b32_e32 v17, 0x7f800000
	v_cmp_ngt_f32_e32 vcc, s2, v18
	v_cndmask_b32_e32 v16, v17, v16, vcc
	v_add_f32_e32 v16, 1.0, v16
	v_div_scale_f32 v17, s[2:3], v16, v16, 1.0
	v_rcp_f32_e32 v18, v17
	v_fma_f32 v38, -v17, v18, 1.0
	v_fmac_f32_e32 v18, v38, v18
	v_div_scale_f32 v38, vcc, 1.0, v16, 1.0
	v_mul_f32_e32 v39, v38, v18
	v_fma_f32 v40, -v17, v39, v38
	v_fmac_f32_e32 v39, v40, v18
	v_fma_f32 v17, -v17, v39, v38
	v_div_fmas_f32 v17, v17, v18, v39
	v_div_fixup_f32 v16, v17, v16, 1.0
.LBB6_31:
	s_or_b64 exec, exec, s[0:1]
	v_cmp_o_f32_e32 vcc, v19, v19
	v_mov_b32_e32 v18, 0
	s_and_saveexec_b64 s[0:1], vcc
	s_cbranch_execz .LBB6_33
; %bb.32:
	v_mul_f32_e32 v17, 0xbfb8aa3b, v19
	s_mov_b32 s2, 0xbfb8aa3b
	v_rndne_f32_e32 v18, v17
	v_sub_f32_e32 v38, v17, v18
	v_fma_f32 v17, v19, s2, -v17
	v_fmac_f32_e32 v17, 0xb2a5705f, v19
	v_add_f32_e32 v17, v38, v17
	v_exp_f32_e32 v17, v17
	v_cvt_i32_f32_e32 v18, v18
	s_mov_b32 s2, 0x42ce8ed0
	v_cmp_nlt_f32_e32 vcc, s2, v19
	s_mov_b32 s2, 0xc2b17218
	v_ldexp_f32 v17, v17, v18
	v_cndmask_b32_e32 v17, 0, v17, vcc
	v_mov_b32_e32 v18, 0x7f800000
	v_cmp_ngt_f32_e32 vcc, s2, v19
	v_cndmask_b32_e32 v17, v18, v17, vcc
	v_add_f32_e32 v17, 1.0, v17
	v_div_scale_f32 v18, s[2:3], v17, v17, 1.0
	v_rcp_f32_e32 v19, v18
	v_fma_f32 v38, -v18, v19, 1.0
	v_fmac_f32_e32 v19, v38, v19
	v_div_scale_f32 v38, vcc, 1.0, v17, 1.0
	v_mul_f32_e32 v39, v38, v19
	v_fma_f32 v40, -v18, v39, v38
	v_fmac_f32_e32 v39, v40, v19
	v_fma_f32 v18, -v18, v39, v38
	v_div_fmas_f32 v18, v18, v19, v39
	v_div_fixup_f32 v18, v18, v17, 1.0
.LBB6_33:
	s_or_b64 exec, exec, s[0:1]
	s_waitcnt vmcnt(0)
	v_add_f32_e32 v12, v12, v35
	v_add_f32_e32 v13, v13, v36
	v_max_f32_e32 v38, 0xff7fffff, v12
	s_mov_b32 s2, 0xff7fffff
	v_cmp_ngt_f32_e32 vcc, v13, v38
	v_mov_b32_e32 v17, v38
	v_mov_b32_e32 v19, v13
	s_and_saveexec_b64 s[0:1], vcc
	s_cbranch_execz .LBB6_37
; %bb.34:
	v_cmp_lt_f32_e32 vcc, s2, v13
	v_mov_b32_e32 v17, 0xff7fffff
	s_and_saveexec_b64 s[2:3], vcc
; %bb.35:
	v_mov_b32_e32 v17, v13
; %bb.36:
	s_or_b64 exec, exec, s[2:3]
	v_mov_b32_e32 v19, v38
.LBB6_37:
	s_or_b64 exec, exec, s[0:1]
	v_add_f32_e32 v14, v14, v28
	v_cmp_ngt_f32_e32 vcc, v14, v19
	v_mov_b32_e32 v39, v19
	v_mov_b32_e32 v38, v14
	s_and_saveexec_b64 s[0:1], vcc
	s_cbranch_execz .LBB6_41
; %bb.38:
	v_cmp_gt_f32_e32 vcc, v14, v17
	s_and_saveexec_b64 s[2:3], vcc
; %bb.39:
	v_mov_b32_e32 v17, v14
; %bb.40:
	s_or_b64 exec, exec, s[2:3]
	v_mov_b32_e32 v39, v17
	v_mov_b32_e32 v38, v19
.LBB6_41:
	s_or_b64 exec, exec, s[0:1]
	v_add_f32_e32 v15, v15, v30
	v_cmp_ngt_f32_e32 vcc, v15, v38
	v_mov_b32_e32 v40, v38
	v_mov_b32_e32 v17, v15
	s_and_saveexec_b64 s[0:1], vcc
	s_cbranch_execz .LBB6_45
; %bb.42:
	v_cmp_gt_f32_e32 vcc, v15, v39
	s_and_saveexec_b64 s[2:3], vcc
; %bb.43:
	v_mov_b32_e32 v39, v15
; %bb.44:
	s_or_b64 exec, exec, s[2:3]
	v_mov_b32_e32 v40, v39
	v_mov_b32_e32 v17, v38
.LBB6_45:
	;; [unrolled: 17-line block ×14, first 2 shown]
	s_or_b64 exec, exec, s[0:1]
	v_cmp_lt_i64_e64 s[0:1], s[46:47], 16
	v_lshlrev_b32_e32 v43, 4, v34
	s_and_b64 vcc, exec, s[0:1]
	s_cbranch_vccz .LBB6_96
; %bb.94:
	s_sub_u32 s6, 16, s46
	s_subb_u32 s7, 0, s47
	v_add_f32_e32 v0, v1, v3
	s_mov_b64 s[8:9], 0
	v_mov_b32_e32 v1, 0x7f7fffff
.LBB6_95:                               ; =>This Inner Loop Header: Depth=1
	v_mov_b32_dpp v2, v43 quad_perm:[1,0,3,2] row_mask:0xf bank_mask:0xf
	v_mov_b32_dpp v3, v0 quad_perm:[1,0,3,2] row_mask:0xf bank_mask:0xf
	v_cmp_eq_f32_e64 s[0:1], v0, v3
	v_cmp_lt_i32_e64 s[2:3], v43, v2
	v_cmp_lt_f32_e32 vcc, v0, v3
	s_and_b64 s[0:1], s[2:3], s[0:1]
	s_or_b64 vcc, vcc, s[0:1]
	v_cndmask_b32_e32 v3, v3, v0, vcc
	v_cndmask_b32_e32 v2, v2, v43, vcc
	s_nop 0
	v_mov_b32_dpp v7, v3 quad_perm:[2,3,0,1] row_mask:0xf bank_mask:0xf
	v_mov_b32_dpp v6, v2 quad_perm:[2,3,0,1] row_mask:0xf bank_mask:0xf
	v_cmp_eq_f32_e32 vcc, v3, v7
	v_cmp_lt_i32_e64 s[0:1], v2, v6
	s_and_b64 vcc, vcc, s[0:1]
	v_cmp_lt_f32_e64 s[0:1], v3, v7
	v_cndmask_b32_e32 v17, v7, v3, vcc
	s_or_b64 vcc, s[0:1], vcc
	v_cndmask_b32_e64 v3, v17, v3, s[0:1]
	v_cndmask_b32_e32 v2, v6, v2, vcc
	s_nop 0
	v_mov_b32_dpp v7, v3 row_half_mirror row_mask:0xf bank_mask:0xf
	v_mov_b32_dpp v6, v2 row_half_mirror row_mask:0xf bank_mask:0xf
	v_cmp_eq_f32_e32 vcc, v3, v7
	v_cmp_lt_i32_e64 s[0:1], v2, v6
	s_and_b64 vcc, vcc, s[0:1]
	v_cmp_lt_f32_e64 s[0:1], v3, v7
	v_cndmask_b32_e32 v17, v7, v3, vcc
	s_or_b64 vcc, s[0:1], vcc
	v_cndmask_b32_e64 v3, v17, v3, s[0:1]
	v_cndmask_b32_e32 v2, v6, v2, vcc
	s_add_u32 s8, s8, 1
	v_mov_b32_dpp v7, v3 row_mirror row_mask:0xf bank_mask:0xf
	v_mov_b32_dpp v6, v2 row_mirror row_mask:0xf bank_mask:0xf
	v_min_i32_e32 v17, v2, v6
	v_cmp_eq_f32_e32 vcc, v3, v7
	v_cndmask_b32_e32 v6, v6, v17, vcc
	v_cmp_lt_f32_e32 vcc, v3, v7
	v_cndmask_b32_e32 v2, v6, v2, vcc
	v_ashrrev_i32_e32 v3, 31, v2
	v_lshrrev_b32_e32 v3, 28, v3
	v_add_u32_e32 v2, v2, v3
	v_ashrrev_i32_e32 v2, 4, v2
	s_addc_u32 s9, s9, 0
	v_cmp_eq_u32_e32 vcc, v34, v2
	v_pk_mov_b32 v[2:3], s[8:9], s[8:9] op_sel:[0,1]
	v_cndmask_b32_e32 v12, v12, v1, vcc
	v_cndmask_b32_e32 v0, v0, v1, vcc
	v_cmp_le_i64_e32 vcc, s[6:7], v[2:3]
	s_cbranch_vccz .LBB6_95
.LBB6_96:
	s_sub_u32 s36, s48, s50
	s_subb_u32 s37, s49, s51
	s_mov_b64 s[0:1], src_shared_base
	s_cmp_lg_u32 0, -1
	s_cselect_b32 s0, s1, 0
	s_cselect_b32 s1, 0, 0
	s_add_u32 s1, s1, 0xff
	s_addc_u32 s0, s0, 0
	s_and_b32 s1, s1, 0xffffff00
	v_mov_b32_e32 v0, s1
	v_mov_b32_e32 v1, s0
	v_lshlrev_b32_e32 v2, 2, v37
	v_mad_u64_u32 v[6:7], s[0:1], v2, s48, v[0:1]
	s_load_dword s33, s[4:5], 0x48
	v_mov_b32_e32 v0, v7
	v_mad_u64_u32 v[0:1], s[0:1], v2, s49, v[0:1]
	v_cmp_lt_i64_e64 s[0:1], s[36:37], 1
	v_mov_b32_e32 v7, v0
	s_and_b64 vcc, exec, s[0:1]
	v_cmp_eq_u32_e64 s[0:1], 0, v34
	s_cbranch_vccnz .LBB6_107
; %bb.97:
	s_waitcnt lgkmcnt(0)
	v_mad_u64_u32 v[0:1], s[2:3], s33, v32, 0
	s_ashr_i32 s6, s33, 31
	v_mov_b32_e32 v2, v1
	v_mad_u64_u32 v[2:3], s[2:3], s6, v32, v[2:3]
	v_mov_b32_e32 v1, v2
	v_lshlrev_b64 v[0:1], 2, v[0:1]
	v_mov_b32_e32 v2, s43
	v_add_co_u32_e32 v0, vcc, s42, v0
	v_addc_co_u32_e32 v1, vcc, v2, v1, vcc
	v_mul_u32_u24_e32 v37, 16, v34
	s_mov_b64 s[38:39], 0
	v_mov_b32_e32 v17, 0
	s_mov_b32 s52, 0x7f7fffff
	v_mov_b32_e32 v44, 0xff7fffff
	v_pk_mov_b32 v[2:3], v[6:7], v[6:7] op_sel:[0,1]
	s_branch .LBB6_99
.LBB6_98:                               ;   in Loop: Header=BB6_99 Depth=1
	s_or_b64 exec, exec, s[2:3]
	v_add_co_u32_e32 v0, vcc, 4, v0
	s_add_u32 s38, s38, 1
	v_addc_co_u32_e32 v1, vcc, 0, v1, vcc
	s_addc_u32 s39, s39, 0
	v_add_co_u32_e32 v2, vcc, 4, v2
	v_addc_co_u32_e32 v3, vcc, 0, v3, vcc
	v_pk_mov_b32 v[46:47], s[38:39], s[38:39] op_sel:[0,1]
	v_cmp_le_i64_e32 vcc, s[36:37], v[46:47]
	s_cbranch_vccnz .LBB6_108
.LBB6_99:                               ; =>This Inner Loop Header: Depth=1
	v_cmp_neq_f32_e32 vcc, s52, v12
	v_mov_b32_e32 v45, 0xff7fffff
	v_mov_b32_e32 v46, v43
	s_and_saveexec_b64 s[2:3], vcc
	s_cbranch_execz .LBB6_101
; %bb.100:                              ;   in Loop: Header=BB6_99 Depth=1
	v_cmp_gt_f32_e32 vcc, v13, v12
	v_cndmask_b32_e32 v45, v12, v13, vcc
	v_cndmask_b32_e64 v46, 0, 1, vcc
	v_cmp_gt_f32_e32 vcc, v14, v45
	v_cndmask_b32_e32 v45, v45, v14, vcc
	v_cndmask_b32_e64 v46, v46, 2, vcc
	v_cmp_gt_f32_e32 vcc, v15, v45
	v_cndmask_b32_e32 v45, v45, v15, vcc
	v_cndmask_b32_e64 v46, v46, 3, vcc
	v_cmp_gt_f32_e32 vcc, v8, v45
	v_cndmask_b32_e32 v45, v45, v8, vcc
	v_cndmask_b32_e64 v46, v46, 4, vcc
	v_cmp_gt_f32_e32 vcc, v9, v45
	v_cndmask_b32_e32 v45, v45, v9, vcc
	v_cndmask_b32_e64 v46, v46, 5, vcc
	v_cmp_gt_f32_e32 vcc, v10, v45
	v_cndmask_b32_e32 v45, v45, v10, vcc
	v_cndmask_b32_e64 v46, v46, 6, vcc
	v_cmp_gt_f32_e32 vcc, v11, v45
	v_cndmask_b32_e32 v45, v45, v11, vcc
	v_cndmask_b32_e64 v46, v46, 7, vcc
	v_cmp_gt_f32_e32 vcc, v4, v45
	v_cndmask_b32_e32 v45, v45, v4, vcc
	v_cndmask_b32_e64 v46, v46, 8, vcc
	v_cmp_gt_f32_e32 vcc, v5, v45
	v_cndmask_b32_e32 v45, v45, v5, vcc
	v_cndmask_b32_e64 v46, v46, 9, vcc
	v_cmp_gt_f32_e32 vcc, v19, v45
	v_cndmask_b32_e32 v45, v45, v19, vcc
	v_cndmask_b32_e64 v46, v46, 10, vcc
	v_cmp_gt_f32_e32 vcc, v38, v45
	v_cndmask_b32_e32 v45, v45, v38, vcc
	v_cndmask_b32_e64 v46, v46, 11, vcc
	v_cmp_gt_f32_e32 vcc, v39, v45
	v_cndmask_b32_e32 v45, v45, v39, vcc
	v_cndmask_b32_e64 v46, v46, 12, vcc
	v_cmp_gt_f32_e32 vcc, v40, v45
	v_cndmask_b32_e32 v45, v45, v40, vcc
	v_cndmask_b32_e64 v46, v46, 13, vcc
	v_cmp_gt_f32_e32 vcc, v41, v45
	v_cndmask_b32_e32 v45, v45, v41, vcc
	v_cndmask_b32_e64 v46, v46, 14, vcc
	v_cmp_gt_f32_e32 vcc, v42, v45
	v_cndmask_b32_e64 v46, v46, 15, vcc
	v_cndmask_b32_e32 v45, v45, v42, vcc
	v_or_b32_e32 v46, v46, v43
.LBB6_101:                              ;   in Loop: Header=BB6_99 Depth=1
	s_or_b64 exec, exec, s[2:3]
	s_nop 0
	v_mov_b32_dpp v47, v46 quad_perm:[1,0,3,2] row_mask:0xf bank_mask:0xf
	v_mov_b32_dpp v48, v45 quad_perm:[1,0,3,2] row_mask:0xf bank_mask:0xf
	v_cmp_eq_f32_e64 s[2:3], v45, v48
	v_cmp_lt_i32_e64 s[6:7], v46, v47
	v_cmp_gt_f32_e32 vcc, v45, v48
	s_and_b64 s[2:3], s[2:3], s[6:7]
	s_or_b64 vcc, vcc, s[2:3]
	v_cndmask_b32_e32 v45, v48, v45, vcc
	v_cndmask_b32_e32 v46, v47, v46, vcc
	s_nop 0
	v_mov_b32_dpp v48, v45 quad_perm:[2,3,0,1] row_mask:0xf bank_mask:0xf
	v_mov_b32_dpp v47, v46 quad_perm:[2,3,0,1] row_mask:0xf bank_mask:0xf
	v_cmp_eq_f32_e32 vcc, v45, v48
	v_cmp_lt_i32_e64 s[2:3], v46, v47
	s_and_b64 vcc, vcc, s[2:3]
	v_cmp_gt_f32_e64 s[2:3], v45, v48
	v_cndmask_b32_e32 v49, v48, v45, vcc
	s_or_b64 vcc, s[2:3], vcc
	v_cndmask_b32_e64 v45, v49, v45, s[2:3]
	v_cndmask_b32_e32 v46, v47, v46, vcc
	s_nop 0
	v_mov_b32_dpp v48, v45 row_half_mirror row_mask:0xf bank_mask:0xf
	v_mov_b32_dpp v47, v46 row_half_mirror row_mask:0xf bank_mask:0xf
	v_cmp_eq_f32_e32 vcc, v45, v48
	v_cmp_lt_i32_e64 s[2:3], v46, v47
	s_and_b64 vcc, vcc, s[2:3]
	v_cmp_gt_f32_e64 s[2:3], v45, v48
	v_cndmask_b32_e32 v49, v48, v45, vcc
	s_or_b64 vcc, s[2:3], vcc
	v_cndmask_b32_e64 v45, v49, v45, s[2:3]
	v_cndmask_b32_e32 v46, v47, v46, vcc
	s_nop 0
	v_mov_b32_dpp v48, v45 row_mirror row_mask:0xf bank_mask:0xf
	v_mov_b32_dpp v47, v46 row_mirror row_mask:0xf bank_mask:0xf
	v_min_i32_e32 v49, v46, v47
	v_cmp_eq_f32_e32 vcc, v45, v48
	v_cndmask_b32_e32 v47, v47, v49, vcc
	v_cmp_gt_f32_e32 vcc, v45, v48
	v_cndmask_b32_e32 v45, v47, v46, vcc
	v_ashrrev_i32_e32 v46, 31, v45
	v_lshrrev_b32_e32 v46, 28, v46
	v_add_u32_e32 v46, v45, v46
	v_ashrrev_i32_e32 v46, 4, v46
	v_cmp_eq_u32_e32 vcc, v34, v46
	s_and_saveexec_b64 s[44:45], vcc
	s_cbranch_execz .LBB6_105
; %bb.102:                              ;   in Loop: Header=BB6_99 Depth=1
	v_sub_u32_e32 v46, v45, v37
	v_cmp_eq_u32_e32 vcc, 1, v46
	v_cmp_eq_u32_e64 s[2:3], 2, v46
	v_cmp_eq_u32_e64 s[6:7], 3, v46
	;; [unrolled: 1-line block ×14, first 2 shown]
	v_cmp_gt_u32_e64 s[34:35], 16, v46
	s_and_saveexec_b64 s[46:47], s[34:35]
	s_cbranch_execz .LBB6_104
; %bb.103:                              ;   in Loop: Header=BB6_99 Depth=1
	v_cndmask_b32_e32 v47, v35, v36, vcc
	v_cndmask_b32_e64 v47, v47, v28, s[2:3]
	v_cndmask_b32_e64 v47, v47, v30, s[6:7]
	;; [unrolled: 1-line block ×14, first 2 shown]
	flat_store_dword v[2:3], v47
.LBB6_104:                              ;   in Loop: Header=BB6_99 Depth=1
	s_or_b64 exec, exec, s[46:47]
	v_cmp_ne_u32_e64 s[34:35], 0, v46
	v_cndmask_b32_e64 v12, v44, v12, s[34:35]
	v_cndmask_b32_e32 v13, v13, v44, vcc
	v_cndmask_b32_e64 v14, v14, v44, s[2:3]
	v_cndmask_b32_e64 v15, v15, v44, s[6:7]
	;; [unrolled: 1-line block ×14, first 2 shown]
	global_store_dword v[0:1], v45, off
.LBB6_105:                              ;   in Loop: Header=BB6_99 Depth=1
	s_or_b64 exec, exec, s[44:45]
	s_waitcnt lgkmcnt(0)
	s_barrier
	s_and_saveexec_b64 s[2:3], s[0:1]
	s_cbranch_execz .LBB6_98
; %bb.106:                              ;   in Loop: Header=BB6_99 Depth=1
	flat_load_dword v45, v[2:3]
	s_waitcnt vmcnt(0) lgkmcnt(0)
	v_add_f32_e32 v17, v17, v45
	s_branch .LBB6_98
.LBB6_107:
	v_mov_b32_e32 v17, 0
.LBB6_108:
	v_cmp_eq_u32_e64 s[0:1], 0, v34
	v_cmp_gt_i64_e64 s[2:3], s[50:51], 0
	s_and_b64 s[6:7], s[0:1], s[2:3]
	s_and_saveexec_b64 s[2:3], s[6:7]
	s_cbranch_execz .LBB6_121
; %bb.109:
	v_cmp_le_u64_e32 vcc, s[50:51], v[32:33]
	v_pk_mov_b32 v[0:1], v[32:33], v[32:33] op_sel:[0,1]
	s_and_saveexec_b64 s[6:7], vcc
	s_cbranch_execz .LBB6_111
; %bb.110:
	v_cvt_f32_u32_e32 v0, s50
	s_sub_i32 s8, 0, s50
	v_rcp_iflag_f32_e32 v0, v0
	v_mul_f32_e32 v0, 0x4f7ffffe, v0
	v_cvt_u32_f32_e32 v0, v0
	v_mul_lo_u32 v1, s8, v0
	v_mul_hi_u32 v1, v0, v1
	v_add_u32_e32 v0, v0, v1
	v_mul_hi_u32 v0, v32, v0
	v_mul_lo_u32 v0, v0, s50
	v_sub_u32_e32 v0, v32, v0
	v_subrev_u32_e32 v1, s50, v0
	v_cmp_le_u32_e32 vcc, s50, v0
	v_cndmask_b32_e32 v0, v0, v1, vcc
	v_subrev_u32_e32 v1, s50, v0
	v_cmp_le_u32_e32 vcc, s50, v0
	v_cndmask_b32_e32 v0, v0, v1, vcc
	v_mov_b32_e32 v1, 0
.LBB6_111:
	s_or_b64 exec, exec, s[6:7]
	s_load_dwordx2 s[4:5], s[4:5], 0x40
	v_cvt_f64_f32_e32 v[8:9], v17
	v_pk_mov_b32 v[2:3], s[36:37], s[36:37] op_sel:[0,1]
	s_waitcnt lgkmcnt(0)
	v_mad_u64_u32 v[10:11], s[6:7], s33, v32, v[2:3]
	v_div_scale_f64 v[12:13], s[6:7], s[4:5], s[4:5], v[8:9]
	v_rcp_f64_e32 v[14:15], v[12:13]
	s_ashr_i32 s8, s33, 31
	v_mov_b32_e32 v2, v11
	v_mad_u64_u32 v[2:3], s[6:7], s8, v32, v[2:3]
	v_mov_b32_e32 v11, v2
	v_lshlrev_b64 v[2:3], 2, v[10:11]
	v_fma_f64 v[18:19], -v[12:13], v[14:15], 1.0
	v_mov_b32_e32 v5, s43
	v_add_co_u32_e32 v4, vcc, s42, v2
	v_fmac_f64_e32 v[14:15], v[14:15], v[18:19]
	v_addc_co_u32_e32 v5, vcc, v5, v3, vcc
	v_fma_f64 v[18:19], -v[12:13], v[14:15], 1.0
	v_fmac_f64_e32 v[14:15], v[14:15], v[18:19]
	v_div_scale_f64 v[18:19], vcc, v[8:9], s[4:5], v[8:9]
	v_mul_f64 v[20:21], v[18:19], v[14:15]
	v_fma_f64 v[12:13], -v[12:13], v[20:21], v[18:19]
	v_add_u32_e32 v16, 0x100, v0
	s_nop 0
	v_div_fmas_f64 v[12:13], v[12:13], v[14:15], v[20:21]
	v_div_fixup_f64 v[8:9], v[12:13], s[4:5], v[8:9]
	v_cvt_f32_f64_e32 v8, v[8:9]
	v_mov_b32_e32 v9, s41
	v_add_co_u32_e32 v14, vcc, s40, v2
	v_addc_co_u32_e32 v15, vcc, v9, v3, vcc
	v_cmp_lt_u64_e64 s[4:5], s[50:51], 2
	s_and_b64 vcc, exec, s[4:5]
	global_store_dword v[4:5], v16, off
	global_store_dword v[14:15], v8, off
	s_cbranch_vccnz .LBB6_121
; %bb.112:
	s_cmp_eq_u64 s[50:51], 2
	s_cbranch_scc1 .LBB6_117
; %bb.113:
	v_add_co_u32_e32 v2, vcc, 1, v0
	v_addc_co_u32_e32 v3, vcc, 0, v1, vcc
	s_add_u32 s4, s50, -1
	v_add_co_u32_e32 v12, vcc, 4, v4
	s_addc_u32 s5, s51, -1
	v_addc_co_u32_e32 v13, vcc, 0, v5, vcc
	s_and_b32 s6, s4, -2
	s_mov_b32 s7, s5
	v_add_co_u32_e32 v14, vcc, 4, v14
	v_pk_mov_b32 v[4:5], v[2:3], v[2:3] op_sel:[0,1]
	v_mov_b32_e32 v9, v8
	v_addc_co_u32_e32 v15, vcc, 0, v15, vcc
	s_mov_b64 s[8:9], s[6:7]
	v_pk_mov_b32 v[2:3], v[0:1], v[0:1] op_sel:[0,1]
.LBB6_114:                              ; =>This Inner Loop Header: Depth=1
	v_add_u32_e32 v19, 0x101, v4
	v_add_co_u32_e32 v4, vcc, 2, v4
	v_addc_co_u32_e32 v5, vcc, 0, v5, vcc
	v_add_u32_e32 v18, 0x101, v2
	v_add_co_u32_e32 v2, vcc, 2, v2
	v_addc_co_u32_e32 v3, vcc, 0, v3, vcc
	global_store_dwordx2 v[14:15], v[8:9], off
	v_add_co_u32_e32 v14, vcc, 8, v14
	v_addc_co_u32_e32 v15, vcc, 0, v15, vcc
	s_add_u32 s8, s8, -2
	global_store_dwordx2 v[12:13], v[18:19], off
	s_addc_u32 s9, s9, -1
	v_add_co_u32_e32 v12, vcc, 8, v12
	s_cmp_lg_u64 s[8:9], 0
	v_addc_co_u32_e32 v13, vcc, 0, v13, vcc
	s_cbranch_scc1 .LBB6_114
; %bb.115:
	s_cmp_eq_u64 s[4:5], s[6:7]
	s_cbranch_scc1 .LBB6_118
; %bb.116:
	v_mov_b32_e32 v1, s7
	v_add_co_u32_e32 v10, vcc, s6, v10
	s_or_b32 s4, s4, 1
	v_add_u32_e32 v0, s6, v0
	v_addc_co_u32_e32 v11, vcc, v11, v1, vcc
	s_cbranch_execnz .LBB6_119
	s_branch .LBB6_121
.LBB6_117:
	s_mov_b32 s4, 1
	s_cbranch_execnz .LBB6_119
	s_branch .LBB6_121
.LBB6_118:
	s_mov_b32 s4, 1
                                        ; implicit-def: $vgpr10_vgpr11
                                        ; implicit-def: $vgpr0
	s_branch .LBB6_121
.LBB6_119:
	v_add_u32_e32 v9, 0x101, v0
	v_lshlrev_b64 v[0:1], 2, v[10:11]
	v_add_co_u32_e32 v2, vcc, 4, v0
	v_addc_co_u32_e32 v3, vcc, 0, v1, vcc
	v_mov_b32_e32 v1, s41
	v_add_co_u32_e32 v0, vcc, s40, v2
	v_addc_co_u32_e32 v1, vcc, v1, v3, vcc
	v_mov_b32_e32 v4, s43
	v_add_co_u32_e32 v2, vcc, s42, v2
	s_mov_b32 s5, 0
	v_addc_co_u32_e32 v3, vcc, v4, v3, vcc
	v_pk_mov_b32 v[4:5], s[50:51], s[50:51] op_sel:[0,1]
.LBB6_120:                              ; =>This Inner Loop Header: Depth=1
	global_store_dword v[2:3], v9, off
	global_store_dword v[0:1], v8, off
	v_add_co_u32_e32 v0, vcc, 4, v0
	v_addc_co_u32_e32 v1, vcc, 0, v1, vcc
	s_add_u32 s4, s4, 1
	v_add_co_u32_e32 v2, vcc, 4, v2
	v_addc_co_u32_e32 v3, vcc, 0, v3, vcc
	s_addc_u32 s5, s5, 0
	v_cmp_lt_u64_e32 vcc, s[4:5], v[4:5]
	v_add_u32_e32 v9, 1, v9
	s_cbranch_vccnz .LBB6_120
.LBB6_121:
	s_or_b64 exec, exec, s[2:3]
	v_cmp_gt_i64_e64 s[4:5], s[48:49], 0
	s_mov_b64 s[2:3], 0
	s_and_b64 s[0:1], s[0:1], s[4:5]
	s_waitcnt lgkmcnt(0)
	s_barrier
	s_and_b64 exec, exec, s[0:1]
	s_cbranch_execz .LBB6_128
; %bb.122:
	v_mad_u64_u32 v[0:1], s[0:1], s33, v32, 0
	s_ashr_i32 s4, s33, 31
	v_mov_b32_e32 v2, v1
	v_mad_u64_u32 v[2:3], s[0:1], s4, v32, v[2:3]
	v_mov_b32_e32 v1, v2
	v_lshlrev_b64 v[0:1], 2, v[0:1]
	v_mov_b32_e32 v2, s41
	v_add_co_u32_e32 v4, vcc, s40, v0
	v_addc_co_u32_e32 v5, vcc, v2, v1, vcc
	v_cmp_lt_u64_e64 s[0:1], s[48:49], 8
	s_and_b64 vcc, exec, s[0:1]
	s_cbranch_vccnz .LBB6_125
; %bb.123:
	s_and_b32 s3, s49, 0x7fffffff
	s_and_b32 s2, s48, -8
	s_mov_b64 s[0:1], 0
	s_mov_b64 s[4:5], s[2:3]
.LBB6_124:                              ; =>This Inner Loop Header: Depth=1
	v_mov_b32_e32 v1, s1
	v_add_co_u32_e32 v2, vcc, s0, v6
	v_addc_co_u32_e32 v3, vcc, v7, v1, vcc
	flat_load_dword v8, v[2:3]
	v_add_co_u32_e32 v0, vcc, s0, v4
	v_addc_co_u32_e32 v1, vcc, v5, v1, vcc
	s_add_u32 s0, s0, 32
	s_addc_u32 s1, s1, 0
	s_add_u32 s4, s4, -8
	s_addc_u32 s5, s5, -1
	s_cmp_lg_u64 s[4:5], 0
	s_waitcnt vmcnt(0) lgkmcnt(0)
	v_div_scale_f32 v9, s[6:7], v17, v17, v8
	v_rcp_f32_e32 v11, v9
	v_div_scale_f32 v10, vcc, v8, v17, v8
	v_fma_f32 v12, -v9, v11, 1.0
	v_fmac_f32_e32 v11, v12, v11
	v_mul_f32_e32 v12, v10, v11
	v_fma_f32 v13, -v9, v12, v10
	v_fmac_f32_e32 v12, v13, v11
	v_fma_f32 v9, -v9, v12, v10
	v_div_fmas_f32 v9, v9, v11, v12
	v_div_fixup_f32 v8, v9, v17, v8
	global_store_dword v[0:1], v8, off
	flat_load_dword v8, v[2:3] offset:4
	s_waitcnt vmcnt(0) lgkmcnt(0)
	v_div_scale_f32 v9, s[6:7], v17, v17, v8
	v_rcp_f32_e32 v11, v9
	v_div_scale_f32 v10, vcc, v8, v17, v8
	v_fma_f32 v12, -v9, v11, 1.0
	v_fmac_f32_e32 v11, v12, v11
	v_mul_f32_e32 v12, v10, v11
	v_fma_f32 v13, -v9, v12, v10
	v_fmac_f32_e32 v12, v13, v11
	v_fma_f32 v9, -v9, v12, v10
	v_div_fmas_f32 v9, v9, v11, v12
	v_div_fixup_f32 v8, v9, v17, v8
	global_store_dword v[0:1], v8, off offset:4
	flat_load_dword v8, v[2:3] offset:8
	s_waitcnt vmcnt(0) lgkmcnt(0)
	v_div_scale_f32 v9, s[6:7], v17, v17, v8
	v_rcp_f32_e32 v11, v9
	v_div_scale_f32 v10, vcc, v8, v17, v8
	v_fma_f32 v12, -v9, v11, 1.0
	v_fmac_f32_e32 v11, v12, v11
	v_mul_f32_e32 v12, v10, v11
	v_fma_f32 v13, -v9, v12, v10
	v_fmac_f32_e32 v12, v13, v11
	v_fma_f32 v9, -v9, v12, v10
	v_div_fmas_f32 v9, v9, v11, v12
	v_div_fixup_f32 v8, v9, v17, v8
	global_store_dword v[0:1], v8, off offset:8
	flat_load_dword v8, v[2:3] offset:12
	s_waitcnt vmcnt(0) lgkmcnt(0)
	v_div_scale_f32 v9, s[6:7], v17, v17, v8
	v_rcp_f32_e32 v11, v9
	v_div_scale_f32 v10, vcc, v8, v17, v8
	v_fma_f32 v12, -v9, v11, 1.0
	v_fmac_f32_e32 v11, v12, v11
	v_mul_f32_e32 v12, v10, v11
	v_fma_f32 v13, -v9, v12, v10
	v_fmac_f32_e32 v12, v13, v11
	v_fma_f32 v9, -v9, v12, v10
	v_div_fmas_f32 v9, v9, v11, v12
	v_div_fixup_f32 v8, v9, v17, v8
	global_store_dword v[0:1], v8, off offset:12
	flat_load_dword v8, v[2:3] offset:16
	s_waitcnt vmcnt(0) lgkmcnt(0)
	v_div_scale_f32 v9, s[6:7], v17, v17, v8
	v_rcp_f32_e32 v11, v9
	v_div_scale_f32 v10, vcc, v8, v17, v8
	v_fma_f32 v12, -v9, v11, 1.0
	v_fmac_f32_e32 v11, v12, v11
	v_mul_f32_e32 v12, v10, v11
	v_fma_f32 v13, -v9, v12, v10
	v_fmac_f32_e32 v12, v13, v11
	v_fma_f32 v9, -v9, v12, v10
	v_div_fmas_f32 v9, v9, v11, v12
	v_div_fixup_f32 v8, v9, v17, v8
	global_store_dword v[0:1], v8, off offset:16
	flat_load_dword v8, v[2:3] offset:20
	s_waitcnt vmcnt(0) lgkmcnt(0)
	v_div_scale_f32 v9, s[6:7], v17, v17, v8
	v_rcp_f32_e32 v11, v9
	v_div_scale_f32 v10, vcc, v8, v17, v8
	v_fma_f32 v12, -v9, v11, 1.0
	v_fmac_f32_e32 v11, v12, v11
	v_mul_f32_e32 v12, v10, v11
	v_fma_f32 v13, -v9, v12, v10
	v_fmac_f32_e32 v12, v13, v11
	v_fma_f32 v9, -v9, v12, v10
	v_div_fmas_f32 v9, v9, v11, v12
	v_div_fixup_f32 v8, v9, v17, v8
	global_store_dword v[0:1], v8, off offset:20
	flat_load_dword v8, v[2:3] offset:24
	s_waitcnt vmcnt(0) lgkmcnt(0)
	v_div_scale_f32 v9, s[6:7], v17, v17, v8
	v_rcp_f32_e32 v10, v9
	v_div_scale_f32 v11, vcc, v8, v17, v8
	v_fma_f32 v12, -v9, v10, 1.0
	v_fmac_f32_e32 v10, v12, v10
	v_mul_f32_e32 v12, v11, v10
	v_fma_f32 v13, -v9, v12, v11
	v_fmac_f32_e32 v12, v13, v10
	v_fma_f32 v9, -v9, v12, v11
	v_div_fmas_f32 v9, v9, v10, v12
	v_div_fixup_f32 v8, v9, v17, v8
	global_store_dword v[0:1], v8, off offset:24
	flat_load_dword v2, v[2:3] offset:28
	s_waitcnt vmcnt(0) lgkmcnt(0)
	v_div_scale_f32 v3, s[6:7], v17, v17, v2
	v_rcp_f32_e32 v8, v3
	v_div_scale_f32 v9, vcc, v2, v17, v2
	v_fma_f32 v10, -v3, v8, 1.0
	v_fmac_f32_e32 v8, v10, v8
	v_mul_f32_e32 v10, v9, v8
	v_fma_f32 v11, -v3, v10, v9
	v_fmac_f32_e32 v10, v11, v8
	v_fma_f32 v3, -v3, v10, v9
	v_div_fmas_f32 v3, v3, v8, v10
	v_div_fixup_f32 v2, v3, v17, v2
	global_store_dword v[0:1], v2, off offset:28
	s_cbranch_scc1 .LBB6_124
.LBB6_125:
	s_and_b32 s0, s48, 7
	s_mov_b32 s1, 0
	s_cmp_eq_u64 s[0:1], 0
	s_cbranch_scc1 .LBB6_128
; %bb.126:
	s_mov_b64 s[4:5], s[0:1]
.LBB6_127:                              ; =>This Inner Loop Header: Depth=1
	s_lshl_b64 s[6:7], s[2:3], 2
	v_mov_b32_e32 v2, s7
	v_add_co_u32_e32 v0, vcc, s6, v6
	v_addc_co_u32_e32 v1, vcc, v7, v2, vcc
	flat_load_dword v3, v[0:1]
	v_add_co_u32_e32 v0, vcc, s6, v4
	v_addc_co_u32_e32 v1, vcc, v5, v2, vcc
	s_add_i32 s0, s2, 1
	s_add_u32 s4, s4, -1
	s_addc_u32 s5, s5, -1
	s_mov_b64 s[2:3], s[0:1]
	s_cmp_lg_u64 s[4:5], 0
	s_waitcnt vmcnt(0) lgkmcnt(0)
	v_div_scale_f32 v2, s[6:7], v17, v17, v3
	v_rcp_f32_e32 v8, v2
	v_div_scale_f32 v9, vcc, v3, v17, v3
	v_fma_f32 v10, -v2, v8, 1.0
	v_fmac_f32_e32 v8, v10, v8
	v_mul_f32_e32 v10, v9, v8
	v_fma_f32 v11, -v2, v10, v9
	v_fmac_f32_e32 v10, v11, v8
	v_fma_f32 v2, -v2, v10, v9
	v_div_fmas_f32 v2, v2, v8, v10
	v_div_fixup_f32 v2, v2, v17, v3
	global_store_dword v[0:1], v2, off
	s_cbranch_scc1 .LBB6_127
.LBB6_128:
	s_endpgm
	.section	.rodata,"a",@progbits
	.p2align	6, 0x0
	.amdhsa_kernel _Z21moe_fused_gate_kernelIfLi16ELi256ELi16ELi1EEvPvS0_PfPilllldi
		.amdhsa_group_segment_fixed_size 0
		.amdhsa_private_segment_fixed_size 0
		.amdhsa_kernarg_size 76
		.amdhsa_user_sgpr_count 6
		.amdhsa_user_sgpr_private_segment_buffer 1
		.amdhsa_user_sgpr_dispatch_ptr 0
		.amdhsa_user_sgpr_queue_ptr 0
		.amdhsa_user_sgpr_kernarg_segment_ptr 1
		.amdhsa_user_sgpr_dispatch_id 0
		.amdhsa_user_sgpr_flat_scratch_init 0
		.amdhsa_user_sgpr_kernarg_preload_length 0
		.amdhsa_user_sgpr_kernarg_preload_offset 0
		.amdhsa_user_sgpr_private_segment_size 0
		.amdhsa_uses_dynamic_stack 0
		.amdhsa_system_sgpr_private_segment_wavefront_offset 0
		.amdhsa_system_sgpr_workgroup_id_x 1
		.amdhsa_system_sgpr_workgroup_id_y 0
		.amdhsa_system_sgpr_workgroup_id_z 0
		.amdhsa_system_sgpr_workgroup_info 0
		.amdhsa_system_vgpr_workitem_id 1
		.amdhsa_next_free_vgpr 50
		.amdhsa_next_free_sgpr 53
		.amdhsa_accum_offset 52
		.amdhsa_reserve_vcc 1
		.amdhsa_reserve_flat_scratch 0
		.amdhsa_float_round_mode_32 0
		.amdhsa_float_round_mode_16_64 0
		.amdhsa_float_denorm_mode_32 3
		.amdhsa_float_denorm_mode_16_64 3
		.amdhsa_dx10_clamp 1
		.amdhsa_ieee_mode 1
		.amdhsa_fp16_overflow 0
		.amdhsa_tg_split 0
		.amdhsa_exception_fp_ieee_invalid_op 0
		.amdhsa_exception_fp_denorm_src 0
		.amdhsa_exception_fp_ieee_div_zero 0
		.amdhsa_exception_fp_ieee_overflow 0
		.amdhsa_exception_fp_ieee_underflow 0
		.amdhsa_exception_fp_ieee_inexact 0
		.amdhsa_exception_int_div_zero 0
	.end_amdhsa_kernel
	.section	.text._Z21moe_fused_gate_kernelIfLi16ELi256ELi16ELi1EEvPvS0_PfPilllldi,"axG",@progbits,_Z21moe_fused_gate_kernelIfLi16ELi256ELi16ELi1EEvPvS0_PfPilllldi,comdat
.Lfunc_end6:
	.size	_Z21moe_fused_gate_kernelIfLi16ELi256ELi16ELi1EEvPvS0_PfPilllldi, .Lfunc_end6-_Z21moe_fused_gate_kernelIfLi16ELi256ELi16ELi1EEvPvS0_PfPilllldi
                                        ; -- End function
	.section	.AMDGPU.csdata,"",@progbits
; Kernel info:
; codeLenInByte = 7376
; NumSgprs: 57
; NumVgprs: 50
; NumAgprs: 0
; TotalNumVgprs: 50
; ScratchSize: 0
; MemoryBound: 1
; FloatMode: 240
; IeeeMode: 1
; LDSByteSize: 0 bytes/workgroup (compile time only)
; SGPRBlocks: 7
; VGPRBlocks: 6
; NumSGPRsForWavesPerEU: 57
; NumVGPRsForWavesPerEU: 50
; AccumOffset: 52
; Occupancy: 8
; WaveLimiterHint : 0
; COMPUTE_PGM_RSRC2:SCRATCH_EN: 0
; COMPUTE_PGM_RSRC2:USER_SGPR: 6
; COMPUTE_PGM_RSRC2:TRAP_HANDLER: 0
; COMPUTE_PGM_RSRC2:TGID_X_EN: 1
; COMPUTE_PGM_RSRC2:TGID_Y_EN: 0
; COMPUTE_PGM_RSRC2:TGID_Z_EN: 0
; COMPUTE_PGM_RSRC2:TIDIG_COMP_CNT: 1
; COMPUTE_PGM_RSRC3_GFX90A:ACCUM_OFFSET: 12
; COMPUTE_PGM_RSRC3_GFX90A:TG_SPLIT: 0
	.section	.text._Z21moe_fused_gate_kernelItLi24ELi192ELi8ELi1EEvPvS0_PfPilllldi,"axG",@progbits,_Z21moe_fused_gate_kernelItLi24ELi192ELi8ELi1EEvPvS0_PfPilllldi,comdat
	.protected	_Z21moe_fused_gate_kernelItLi24ELi192ELi8ELi1EEvPvS0_PfPilllldi ; -- Begin function _Z21moe_fused_gate_kernelItLi24ELi192ELi8ELi1EEvPvS0_PfPilllldi
	.globl	_Z21moe_fused_gate_kernelItLi24ELi192ELi8ELi1EEvPvS0_PfPilllldi
	.p2align	8
	.type	_Z21moe_fused_gate_kernelItLi24ELi192ELi8ELi1EEvPvS0_PfPilllldi,@function
_Z21moe_fused_gate_kernelItLi24ELi192ELi8ELi1EEvPvS0_PfPilllldi: ; @_Z21moe_fused_gate_kernelItLi24ELi192ELi8ELi1EEvPvS0_PfPilllldi
; %bb.0:
	s_load_dwordx16 s[48:63], s[4:5], 0x0
	v_and_b32_e32 v1, 0x3ff, v0
	v_bfe_u32 v0, v0, 10, 10
	v_add_u32_e32 v0, s6, v0
	v_lshrrev_b32_e32 v50, 3, v1
	v_mov_b32_e32 v54, 0
	v_lshl_add_u32 v24, v0, 3, v50
	v_mov_b32_e32 v25, v54
	s_waitcnt lgkmcnt(0)
	v_cmp_gt_i64_e32 vcc, s[56:57], v[24:25]
	s_and_saveexec_b64 s[0:1], vcc
	s_cbranch_execz .LBB7_176
; %bb.1:
	v_and_b32_e32 v52, 7, v1
	v_mov_b32_e32 v2, s48
	v_mov_b32_e32 v3, s49
	s_movk_i32 s0, 0x180
	v_mul_u32_u24_e32 v53, 24, v52
	v_mad_u64_u32 v[2:3], s[0:1], v24, s0, v[2:3]
	v_lshlrev_b32_e32 v28, 1, v53
	v_add_co_u32_e32 v26, vcc, v2, v28
	v_addc_co_u32_e32 v27, vcc, 0, v3, vcc
	global_load_dwordx4 v[12:15], v[26:27], off offset:32
	global_load_dwordx4 v[16:19], v[26:27], off offset:16
	global_load_dwordx4 v[20:23], v[26:27], off
	global_load_dwordx4 v[0:3], v28, s[50:51] offset:32
	global_load_dwordx4 v[4:7], v28, s[50:51] offset:16
	global_load_dwordx4 v[8:11], v28, s[50:51]
	s_waitcnt vmcnt(3)
	v_lshlrev_b32_e32 v26, 16, v20
	v_cmp_o_f32_e32 vcc, v26, v26
	s_and_saveexec_b64 s[0:1], vcc
	s_cbranch_execz .LBB7_3
; %bb.2:
	v_mul_f32_e32 v27, 0xbfb8aa3b, v26
	s_mov_b32 s2, 0xbfb8aa3b
	v_rndne_f32_e32 v28, v27
	v_sub_f32_e32 v29, v27, v28
	v_fma_f32 v27, v26, s2, -v27
	v_fmac_f32_e32 v27, 0xb2a5705f, v26
	v_add_f32_e32 v27, v29, v27
	v_exp_f32_e32 v27, v27
	v_cvt_i32_f32_e32 v28, v28
	s_mov_b32 s2, 0x42ce8ed0
	v_cmp_nlt_f32_e32 vcc, s2, v26
	s_mov_b32 s2, 0xc2b17218
	v_ldexp_f32 v27, v27, v28
	v_cndmask_b32_e32 v27, 0, v27, vcc
	v_mov_b32_e32 v28, 0x7f800000
	v_cmp_ngt_f32_e32 vcc, s2, v26
	v_cndmask_b32_e32 v26, v28, v27, vcc
	v_add_f32_e32 v26, 1.0, v26
	v_div_scale_f32 v27, s[2:3], v26, v26, 1.0
	v_rcp_f32_e32 v28, v27
	v_fma_f32 v29, -v27, v28, 1.0
	v_fmac_f32_e32 v28, v29, v28
	v_div_scale_f32 v29, vcc, 1.0, v26, 1.0
	v_mul_f32_e32 v30, v29, v28
	v_fma_f32 v31, -v27, v30, v29
	v_fmac_f32_e32 v30, v31, v28
	v_fma_f32 v27, -v27, v30, v29
	v_div_fmas_f32 v27, v27, v28, v30
	v_div_fixup_f32 v54, v27, v26, 1.0
.LBB7_3:
	s_or_b64 exec, exec, s[0:1]
	v_and_b32_e32 v20, 0xffff0000, v20
	v_cmp_o_f32_e32 vcc, v20, v20
	v_mov_b32_e32 v27, 0
	v_mov_b32_e32 v26, 0
	s_and_saveexec_b64 s[0:1], vcc
	s_cbranch_execz .LBB7_5
; %bb.4:
	v_mul_f32_e32 v26, 0xbfb8aa3b, v20
	s_mov_b32 s2, 0xbfb8aa3b
	v_rndne_f32_e32 v28, v26
	v_sub_f32_e32 v29, v26, v28
	v_fma_f32 v26, v20, s2, -v26
	v_fmac_f32_e32 v26, 0xb2a5705f, v20
	v_add_f32_e32 v26, v29, v26
	v_exp_f32_e32 v26, v26
	v_cvt_i32_f32_e32 v28, v28
	s_mov_b32 s2, 0x42ce8ed0
	v_cmp_nlt_f32_e32 vcc, s2, v20
	s_mov_b32 s2, 0xc2b17218
	v_ldexp_f32 v26, v26, v28
	v_cndmask_b32_e32 v26, 0, v26, vcc
	v_mov_b32_e32 v28, 0x7f800000
	v_cmp_ngt_f32_e32 vcc, s2, v20
	v_cndmask_b32_e32 v20, v28, v26, vcc
	v_add_f32_e32 v20, 1.0, v20
	v_div_scale_f32 v26, s[2:3], v20, v20, 1.0
	v_rcp_f32_e32 v28, v26
	v_fma_f32 v29, -v26, v28, 1.0
	v_fmac_f32_e32 v28, v29, v28
	v_div_scale_f32 v29, vcc, 1.0, v20, 1.0
	v_mul_f32_e32 v30, v29, v28
	v_fma_f32 v31, -v26, v30, v29
	v_fmac_f32_e32 v30, v31, v28
	v_fma_f32 v26, -v26, v30, v29
	v_div_fmas_f32 v26, v26, v28, v30
	v_div_fixup_f32 v26, v26, v20, 1.0
.LBB7_5:
	s_or_b64 exec, exec, s[0:1]
	v_lshlrev_b32_e32 v20, 16, v21
	v_cmp_o_f32_e32 vcc, v20, v20
	s_and_saveexec_b64 s[0:1], vcc
	s_cbranch_execz .LBB7_7
; %bb.6:
	v_mul_f32_e32 v27, 0xbfb8aa3b, v20
	s_mov_b32 s2, 0xbfb8aa3b
	v_rndne_f32_e32 v28, v27
	v_sub_f32_e32 v29, v27, v28
	v_fma_f32 v27, v20, s2, -v27
	v_fmac_f32_e32 v27, 0xb2a5705f, v20
	v_add_f32_e32 v27, v29, v27
	v_exp_f32_e32 v27, v27
	v_cvt_i32_f32_e32 v28, v28
	s_mov_b32 s2, 0x42ce8ed0
	v_cmp_nlt_f32_e32 vcc, s2, v20
	s_mov_b32 s2, 0xc2b17218
	v_ldexp_f32 v27, v27, v28
	v_cndmask_b32_e32 v27, 0, v27, vcc
	v_mov_b32_e32 v28, 0x7f800000
	v_cmp_ngt_f32_e32 vcc, s2, v20
	v_cndmask_b32_e32 v20, v28, v27, vcc
	v_add_f32_e32 v20, 1.0, v20
	v_div_scale_f32 v27, s[2:3], v20, v20, 1.0
	v_rcp_f32_e32 v28, v27
	v_fma_f32 v29, -v27, v28, 1.0
	v_fmac_f32_e32 v28, v29, v28
	v_div_scale_f32 v29, vcc, 1.0, v20, 1.0
	v_mul_f32_e32 v30, v29, v28
	v_fma_f32 v31, -v27, v30, v29
	v_fmac_f32_e32 v30, v31, v28
	v_fma_f32 v27, -v27, v30, v29
	v_div_fmas_f32 v27, v27, v28, v30
	v_div_fixup_f32 v27, v27, v20, 1.0
.LBB7_7:
	s_or_b64 exec, exec, s[0:1]
	v_and_b32_e32 v28, 0xffff0000, v21
	v_cmp_o_f32_e32 vcc, v28, v28
	v_mov_b32_e32 v21, 0
	v_mov_b32_e32 v20, 0
	s_and_saveexec_b64 s[0:1], vcc
	s_cbranch_execz .LBB7_9
; %bb.8:
	v_mul_f32_e32 v20, 0xbfb8aa3b, v28
	s_mov_b32 s2, 0xbfb8aa3b
	v_rndne_f32_e32 v29, v20
	v_sub_f32_e32 v30, v20, v29
	v_fma_f32 v20, v28, s2, -v20
	v_fmac_f32_e32 v20, 0xb2a5705f, v28
	v_add_f32_e32 v20, v30, v20
	v_exp_f32_e32 v20, v20
	v_cvt_i32_f32_e32 v29, v29
	s_mov_b32 s2, 0x42ce8ed0
	v_cmp_nlt_f32_e32 vcc, s2, v28
	s_mov_b32 s2, 0xc2b17218
	v_ldexp_f32 v20, v20, v29
	v_cndmask_b32_e32 v20, 0, v20, vcc
	v_mov_b32_e32 v29, 0x7f800000
	v_cmp_ngt_f32_e32 vcc, s2, v28
	v_cndmask_b32_e32 v20, v29, v20, vcc
	v_add_f32_e32 v20, 1.0, v20
	v_div_scale_f32 v28, s[2:3], v20, v20, 1.0
	v_rcp_f32_e32 v29, v28
	v_fma_f32 v30, -v28, v29, 1.0
	v_fmac_f32_e32 v29, v30, v29
	v_div_scale_f32 v30, vcc, 1.0, v20, 1.0
	v_mul_f32_e32 v31, v30, v29
	v_fma_f32 v32, -v28, v31, v30
	v_fmac_f32_e32 v31, v32, v29
	v_fma_f32 v28, -v28, v31, v30
	v_div_fmas_f32 v28, v28, v29, v31
	v_div_fixup_f32 v20, v28, v20, 1.0
.LBB7_9:
	s_or_b64 exec, exec, s[0:1]
	v_lshlrev_b32_e32 v28, 16, v22
	v_cmp_o_f32_e32 vcc, v28, v28
	s_and_saveexec_b64 s[0:1], vcc
	s_cbranch_execz .LBB7_11
; %bb.10:
	v_mul_f32_e32 v21, 0xbfb8aa3b, v28
	s_mov_b32 s2, 0xbfb8aa3b
	v_rndne_f32_e32 v29, v21
	v_sub_f32_e32 v30, v21, v29
	v_fma_f32 v21, v28, s2, -v21
	v_fmac_f32_e32 v21, 0xb2a5705f, v28
	v_add_f32_e32 v21, v30, v21
	v_exp_f32_e32 v21, v21
	v_cvt_i32_f32_e32 v29, v29
	s_mov_b32 s2, 0x42ce8ed0
	v_cmp_nlt_f32_e32 vcc, s2, v28
	s_mov_b32 s2, 0xc2b17218
	v_ldexp_f32 v21, v21, v29
	v_cndmask_b32_e32 v21, 0, v21, vcc
	v_mov_b32_e32 v29, 0x7f800000
	v_cmp_ngt_f32_e32 vcc, s2, v28
	v_cndmask_b32_e32 v21, v29, v21, vcc
	v_add_f32_e32 v21, 1.0, v21
	v_div_scale_f32 v28, s[2:3], v21, v21, 1.0
	v_rcp_f32_e32 v29, v28
	v_fma_f32 v30, -v28, v29, 1.0
	v_fmac_f32_e32 v29, v30, v29
	v_div_scale_f32 v30, vcc, 1.0, v21, 1.0
	v_mul_f32_e32 v31, v30, v29
	v_fma_f32 v32, -v28, v31, v30
	v_fmac_f32_e32 v31, v32, v29
	v_fma_f32 v28, -v28, v31, v30
	v_div_fmas_f32 v28, v28, v29, v31
	v_div_fixup_f32 v21, v28, v21, 1.0
.LBB7_11:
	s_or_b64 exec, exec, s[0:1]
	v_and_b32_e32 v22, 0xffff0000, v22
	v_cmp_o_f32_e32 vcc, v22, v22
	v_mov_b32_e32 v29, 0
	v_mov_b32_e32 v28, 0
	s_and_saveexec_b64 s[0:1], vcc
	s_cbranch_execz .LBB7_13
; %bb.12:
	v_mul_f32_e32 v28, 0xbfb8aa3b, v22
	s_mov_b32 s2, 0xbfb8aa3b
	v_rndne_f32_e32 v30, v28
	v_sub_f32_e32 v31, v28, v30
	v_fma_f32 v28, v22, s2, -v28
	v_fmac_f32_e32 v28, 0xb2a5705f, v22
	v_add_f32_e32 v28, v31, v28
	v_exp_f32_e32 v28, v28
	v_cvt_i32_f32_e32 v30, v30
	s_mov_b32 s2, 0x42ce8ed0
	v_cmp_nlt_f32_e32 vcc, s2, v22
	s_mov_b32 s2, 0xc2b17218
	v_ldexp_f32 v28, v28, v30
	v_cndmask_b32_e32 v28, 0, v28, vcc
	v_mov_b32_e32 v30, 0x7f800000
	v_cmp_ngt_f32_e32 vcc, s2, v22
	v_cndmask_b32_e32 v22, v30, v28, vcc
	v_add_f32_e32 v22, 1.0, v22
	v_div_scale_f32 v28, s[2:3], v22, v22, 1.0
	v_rcp_f32_e32 v30, v28
	v_fma_f32 v31, -v28, v30, 1.0
	v_fmac_f32_e32 v30, v31, v30
	v_div_scale_f32 v31, vcc, 1.0, v22, 1.0
	v_mul_f32_e32 v32, v31, v30
	v_fma_f32 v33, -v28, v32, v31
	v_fmac_f32_e32 v32, v33, v30
	v_fma_f32 v28, -v28, v32, v31
	v_div_fmas_f32 v28, v28, v30, v32
	v_div_fixup_f32 v28, v28, v22, 1.0
.LBB7_13:
	s_or_b64 exec, exec, s[0:1]
	v_lshlrev_b32_e32 v22, 16, v23
	v_cmp_o_f32_e32 vcc, v22, v22
	s_and_saveexec_b64 s[0:1], vcc
	s_cbranch_execz .LBB7_15
; %bb.14:
	v_mul_f32_e32 v29, 0xbfb8aa3b, v22
	s_mov_b32 s2, 0xbfb8aa3b
	v_rndne_f32_e32 v30, v29
	v_sub_f32_e32 v31, v29, v30
	v_fma_f32 v29, v22, s2, -v29
	v_fmac_f32_e32 v29, 0xb2a5705f, v22
	v_add_f32_e32 v29, v31, v29
	v_exp_f32_e32 v29, v29
	v_cvt_i32_f32_e32 v30, v30
	s_mov_b32 s2, 0x42ce8ed0
	v_cmp_nlt_f32_e32 vcc, s2, v22
	s_mov_b32 s2, 0xc2b17218
	v_ldexp_f32 v29, v29, v30
	v_cndmask_b32_e32 v29, 0, v29, vcc
	v_mov_b32_e32 v30, 0x7f800000
	v_cmp_ngt_f32_e32 vcc, s2, v22
	v_cndmask_b32_e32 v22, v30, v29, vcc
	v_add_f32_e32 v22, 1.0, v22
	v_div_scale_f32 v29, s[2:3], v22, v22, 1.0
	v_rcp_f32_e32 v30, v29
	v_fma_f32 v31, -v29, v30, 1.0
	v_fmac_f32_e32 v30, v31, v30
	v_div_scale_f32 v31, vcc, 1.0, v22, 1.0
	v_mul_f32_e32 v32, v31, v30
	v_fma_f32 v33, -v29, v32, v31
	v_fmac_f32_e32 v32, v33, v30
	v_fma_f32 v29, -v29, v32, v31
	v_div_fmas_f32 v29, v29, v30, v32
	v_div_fixup_f32 v29, v29, v22, 1.0
.LBB7_15:
	s_or_b64 exec, exec, s[0:1]
	v_and_b32_e32 v30, 0xffff0000, v23
	v_cmp_o_f32_e32 vcc, v30, v30
	v_mov_b32_e32 v23, 0
	v_mov_b32_e32 v22, 0
	s_and_saveexec_b64 s[0:1], vcc
	s_cbranch_execz .LBB7_17
; %bb.16:
	v_mul_f32_e32 v22, 0xbfb8aa3b, v30
	s_mov_b32 s2, 0xbfb8aa3b
	v_rndne_f32_e32 v31, v22
	v_sub_f32_e32 v32, v22, v31
	v_fma_f32 v22, v30, s2, -v22
	v_fmac_f32_e32 v22, 0xb2a5705f, v30
	v_add_f32_e32 v22, v32, v22
	v_exp_f32_e32 v22, v22
	v_cvt_i32_f32_e32 v31, v31
	s_mov_b32 s2, 0x42ce8ed0
	v_cmp_nlt_f32_e32 vcc, s2, v30
	s_mov_b32 s2, 0xc2b17218
	v_ldexp_f32 v22, v22, v31
	v_cndmask_b32_e32 v22, 0, v22, vcc
	v_mov_b32_e32 v31, 0x7f800000
	v_cmp_ngt_f32_e32 vcc, s2, v30
	v_cndmask_b32_e32 v22, v31, v22, vcc
	v_add_f32_e32 v22, 1.0, v22
	v_div_scale_f32 v30, s[2:3], v22, v22, 1.0
	v_rcp_f32_e32 v31, v30
	v_fma_f32 v32, -v30, v31, 1.0
	v_fmac_f32_e32 v31, v32, v31
	v_div_scale_f32 v32, vcc, 1.0, v22, 1.0
	v_mul_f32_e32 v33, v32, v31
	v_fma_f32 v34, -v30, v33, v32
	v_fmac_f32_e32 v33, v34, v31
	v_fma_f32 v30, -v30, v33, v32
	v_div_fmas_f32 v30, v30, v31, v33
	v_div_fixup_f32 v22, v30, v22, 1.0
.LBB7_17:
	s_or_b64 exec, exec, s[0:1]
	v_lshlrev_b32_e32 v30, 16, v16
	v_cmp_o_f32_e32 vcc, v30, v30
	s_and_saveexec_b64 s[0:1], vcc
	s_cbranch_execz .LBB7_19
; %bb.18:
	v_mul_f32_e32 v23, 0xbfb8aa3b, v30
	s_mov_b32 s2, 0xbfb8aa3b
	v_rndne_f32_e32 v31, v23
	v_sub_f32_e32 v32, v23, v31
	v_fma_f32 v23, v30, s2, -v23
	v_fmac_f32_e32 v23, 0xb2a5705f, v30
	v_add_f32_e32 v23, v32, v23
	v_exp_f32_e32 v23, v23
	v_cvt_i32_f32_e32 v31, v31
	s_mov_b32 s2, 0x42ce8ed0
	v_cmp_nlt_f32_e32 vcc, s2, v30
	s_mov_b32 s2, 0xc2b17218
	v_ldexp_f32 v23, v23, v31
	v_cndmask_b32_e32 v23, 0, v23, vcc
	v_mov_b32_e32 v31, 0x7f800000
	v_cmp_ngt_f32_e32 vcc, s2, v30
	v_cndmask_b32_e32 v23, v31, v23, vcc
	v_add_f32_e32 v23, 1.0, v23
	v_div_scale_f32 v30, s[2:3], v23, v23, 1.0
	v_rcp_f32_e32 v31, v30
	v_fma_f32 v32, -v30, v31, 1.0
	v_fmac_f32_e32 v31, v32, v31
	v_div_scale_f32 v32, vcc, 1.0, v23, 1.0
	v_mul_f32_e32 v33, v32, v31
	v_fma_f32 v34, -v30, v33, v32
	v_fmac_f32_e32 v33, v34, v31
	v_fma_f32 v30, -v30, v33, v32
	v_div_fmas_f32 v30, v30, v31, v33
	v_div_fixup_f32 v23, v30, v23, 1.0
.LBB7_19:
	s_or_b64 exec, exec, s[0:1]
	v_and_b32_e32 v16, 0xffff0000, v16
	v_cmp_o_f32_e32 vcc, v16, v16
	v_mov_b32_e32 v31, 0
	v_mov_b32_e32 v30, 0
	s_and_saveexec_b64 s[0:1], vcc
	s_cbranch_execz .LBB7_21
; %bb.20:
	v_mul_f32_e32 v30, 0xbfb8aa3b, v16
	s_mov_b32 s2, 0xbfb8aa3b
	v_rndne_f32_e32 v32, v30
	v_sub_f32_e32 v33, v30, v32
	v_fma_f32 v30, v16, s2, -v30
	v_fmac_f32_e32 v30, 0xb2a5705f, v16
	v_add_f32_e32 v30, v33, v30
	v_exp_f32_e32 v30, v30
	v_cvt_i32_f32_e32 v32, v32
	s_mov_b32 s2, 0x42ce8ed0
	v_cmp_nlt_f32_e32 vcc, s2, v16
	s_mov_b32 s2, 0xc2b17218
	v_ldexp_f32 v30, v30, v32
	v_cndmask_b32_e32 v30, 0, v30, vcc
	v_mov_b32_e32 v32, 0x7f800000
	v_cmp_ngt_f32_e32 vcc, s2, v16
	v_cndmask_b32_e32 v16, v32, v30, vcc
	v_add_f32_e32 v16, 1.0, v16
	v_div_scale_f32 v30, s[2:3], v16, v16, 1.0
	v_rcp_f32_e32 v32, v30
	v_fma_f32 v33, -v30, v32, 1.0
	v_fmac_f32_e32 v32, v33, v32
	v_div_scale_f32 v33, vcc, 1.0, v16, 1.0
	v_mul_f32_e32 v34, v33, v32
	v_fma_f32 v35, -v30, v34, v33
	v_fmac_f32_e32 v34, v35, v32
	v_fma_f32 v30, -v30, v34, v33
	v_div_fmas_f32 v30, v30, v32, v34
	v_div_fixup_f32 v30, v30, v16, 1.0
.LBB7_21:
	s_or_b64 exec, exec, s[0:1]
	v_lshlrev_b32_e32 v16, 16, v17
	v_cmp_o_f32_e32 vcc, v16, v16
	s_and_saveexec_b64 s[0:1], vcc
	s_cbranch_execz .LBB7_23
; %bb.22:
	v_mul_f32_e32 v31, 0xbfb8aa3b, v16
	s_mov_b32 s2, 0xbfb8aa3b
	v_rndne_f32_e32 v32, v31
	v_sub_f32_e32 v33, v31, v32
	v_fma_f32 v31, v16, s2, -v31
	v_fmac_f32_e32 v31, 0xb2a5705f, v16
	v_add_f32_e32 v31, v33, v31
	v_exp_f32_e32 v31, v31
	v_cvt_i32_f32_e32 v32, v32
	s_mov_b32 s2, 0x42ce8ed0
	v_cmp_nlt_f32_e32 vcc, s2, v16
	s_mov_b32 s2, 0xc2b17218
	v_ldexp_f32 v31, v31, v32
	v_cndmask_b32_e32 v31, 0, v31, vcc
	v_mov_b32_e32 v32, 0x7f800000
	v_cmp_ngt_f32_e32 vcc, s2, v16
	v_cndmask_b32_e32 v16, v32, v31, vcc
	v_add_f32_e32 v16, 1.0, v16
	v_div_scale_f32 v31, s[2:3], v16, v16, 1.0
	v_rcp_f32_e32 v32, v31
	v_fma_f32 v33, -v31, v32, 1.0
	v_fmac_f32_e32 v32, v33, v32
	v_div_scale_f32 v33, vcc, 1.0, v16, 1.0
	v_mul_f32_e32 v34, v33, v32
	v_fma_f32 v35, -v31, v34, v33
	v_fmac_f32_e32 v34, v35, v32
	v_fma_f32 v31, -v31, v34, v33
	v_div_fmas_f32 v31, v31, v32, v34
	v_div_fixup_f32 v31, v31, v16, 1.0
.LBB7_23:
	s_or_b64 exec, exec, s[0:1]
	v_and_b32_e32 v32, 0xffff0000, v17
	v_cmp_o_f32_e32 vcc, v32, v32
	v_mov_b32_e32 v17, 0
	v_mov_b32_e32 v16, 0
	s_and_saveexec_b64 s[0:1], vcc
	s_cbranch_execz .LBB7_25
; %bb.24:
	v_mul_f32_e32 v16, 0xbfb8aa3b, v32
	s_mov_b32 s2, 0xbfb8aa3b
	v_rndne_f32_e32 v33, v16
	v_sub_f32_e32 v34, v16, v33
	v_fma_f32 v16, v32, s2, -v16
	v_fmac_f32_e32 v16, 0xb2a5705f, v32
	v_add_f32_e32 v16, v34, v16
	v_exp_f32_e32 v16, v16
	v_cvt_i32_f32_e32 v33, v33
	s_mov_b32 s2, 0x42ce8ed0
	v_cmp_nlt_f32_e32 vcc, s2, v32
	s_mov_b32 s2, 0xc2b17218
	v_ldexp_f32 v16, v16, v33
	v_cndmask_b32_e32 v16, 0, v16, vcc
	v_mov_b32_e32 v33, 0x7f800000
	v_cmp_ngt_f32_e32 vcc, s2, v32
	v_cndmask_b32_e32 v16, v33, v16, vcc
	v_add_f32_e32 v16, 1.0, v16
	v_div_scale_f32 v32, s[2:3], v16, v16, 1.0
	v_rcp_f32_e32 v33, v32
	v_fma_f32 v34, -v32, v33, 1.0
	v_fmac_f32_e32 v33, v34, v33
	v_div_scale_f32 v34, vcc, 1.0, v16, 1.0
	v_mul_f32_e32 v35, v34, v33
	v_fma_f32 v36, -v32, v35, v34
	v_fmac_f32_e32 v35, v36, v33
	v_fma_f32 v32, -v32, v35, v34
	v_div_fmas_f32 v32, v32, v33, v35
	v_div_fixup_f32 v16, v32, v16, 1.0
.LBB7_25:
	s_or_b64 exec, exec, s[0:1]
	v_lshlrev_b32_e32 v32, 16, v18
	v_cmp_o_f32_e32 vcc, v32, v32
	s_and_saveexec_b64 s[0:1], vcc
	s_cbranch_execz .LBB7_27
; %bb.26:
	v_mul_f32_e32 v17, 0xbfb8aa3b, v32
	s_mov_b32 s2, 0xbfb8aa3b
	v_rndne_f32_e32 v33, v17
	v_sub_f32_e32 v34, v17, v33
	v_fma_f32 v17, v32, s2, -v17
	v_fmac_f32_e32 v17, 0xb2a5705f, v32
	v_add_f32_e32 v17, v34, v17
	v_exp_f32_e32 v17, v17
	v_cvt_i32_f32_e32 v33, v33
	s_mov_b32 s2, 0x42ce8ed0
	v_cmp_nlt_f32_e32 vcc, s2, v32
	s_mov_b32 s2, 0xc2b17218
	v_ldexp_f32 v17, v17, v33
	v_cndmask_b32_e32 v17, 0, v17, vcc
	v_mov_b32_e32 v33, 0x7f800000
	v_cmp_ngt_f32_e32 vcc, s2, v32
	v_cndmask_b32_e32 v17, v33, v17, vcc
	v_add_f32_e32 v17, 1.0, v17
	v_div_scale_f32 v32, s[2:3], v17, v17, 1.0
	v_rcp_f32_e32 v33, v32
	v_fma_f32 v34, -v32, v33, 1.0
	v_fmac_f32_e32 v33, v34, v33
	v_div_scale_f32 v34, vcc, 1.0, v17, 1.0
	v_mul_f32_e32 v35, v34, v33
	v_fma_f32 v36, -v32, v35, v34
	v_fmac_f32_e32 v35, v36, v33
	v_fma_f32 v32, -v32, v35, v34
	v_div_fmas_f32 v32, v32, v33, v35
	v_div_fixup_f32 v17, v32, v17, 1.0
.LBB7_27:
	s_or_b64 exec, exec, s[0:1]
	v_and_b32_e32 v18, 0xffff0000, v18
	v_cmp_o_f32_e32 vcc, v18, v18
	v_mov_b32_e32 v33, 0
	v_mov_b32_e32 v32, 0
	s_and_saveexec_b64 s[0:1], vcc
	s_cbranch_execz .LBB7_29
; %bb.28:
	v_mul_f32_e32 v32, 0xbfb8aa3b, v18
	s_mov_b32 s2, 0xbfb8aa3b
	v_rndne_f32_e32 v34, v32
	v_sub_f32_e32 v35, v32, v34
	v_fma_f32 v32, v18, s2, -v32
	v_fmac_f32_e32 v32, 0xb2a5705f, v18
	v_add_f32_e32 v32, v35, v32
	v_exp_f32_e32 v32, v32
	v_cvt_i32_f32_e32 v34, v34
	s_mov_b32 s2, 0x42ce8ed0
	v_cmp_nlt_f32_e32 vcc, s2, v18
	s_mov_b32 s2, 0xc2b17218
	v_ldexp_f32 v32, v32, v34
	v_cndmask_b32_e32 v32, 0, v32, vcc
	v_mov_b32_e32 v34, 0x7f800000
	v_cmp_ngt_f32_e32 vcc, s2, v18
	v_cndmask_b32_e32 v18, v34, v32, vcc
	v_add_f32_e32 v18, 1.0, v18
	v_div_scale_f32 v32, s[2:3], v18, v18, 1.0
	v_rcp_f32_e32 v34, v32
	v_fma_f32 v35, -v32, v34, 1.0
	v_fmac_f32_e32 v34, v35, v34
	v_div_scale_f32 v35, vcc, 1.0, v18, 1.0
	v_mul_f32_e32 v36, v35, v34
	v_fma_f32 v37, -v32, v36, v35
	v_fmac_f32_e32 v36, v37, v34
	v_fma_f32 v32, -v32, v36, v35
	v_div_fmas_f32 v32, v32, v34, v36
	v_div_fixup_f32 v32, v32, v18, 1.0
.LBB7_29:
	s_or_b64 exec, exec, s[0:1]
	v_lshlrev_b32_e32 v18, 16, v19
	v_cmp_o_f32_e32 vcc, v18, v18
	s_and_saveexec_b64 s[0:1], vcc
	s_cbranch_execz .LBB7_31
; %bb.30:
	v_mul_f32_e32 v33, 0xbfb8aa3b, v18
	s_mov_b32 s2, 0xbfb8aa3b
	v_rndne_f32_e32 v34, v33
	v_sub_f32_e32 v35, v33, v34
	v_fma_f32 v33, v18, s2, -v33
	v_fmac_f32_e32 v33, 0xb2a5705f, v18
	v_add_f32_e32 v33, v35, v33
	v_exp_f32_e32 v33, v33
	v_cvt_i32_f32_e32 v34, v34
	s_mov_b32 s2, 0x42ce8ed0
	v_cmp_nlt_f32_e32 vcc, s2, v18
	s_mov_b32 s2, 0xc2b17218
	v_ldexp_f32 v33, v33, v34
	v_cndmask_b32_e32 v33, 0, v33, vcc
	v_mov_b32_e32 v34, 0x7f800000
	v_cmp_ngt_f32_e32 vcc, s2, v18
	v_cndmask_b32_e32 v18, v34, v33, vcc
	v_add_f32_e32 v18, 1.0, v18
	v_div_scale_f32 v33, s[2:3], v18, v18, 1.0
	v_rcp_f32_e32 v34, v33
	v_fma_f32 v35, -v33, v34, 1.0
	v_fmac_f32_e32 v34, v35, v34
	v_div_scale_f32 v35, vcc, 1.0, v18, 1.0
	v_mul_f32_e32 v36, v35, v34
	v_fma_f32 v37, -v33, v36, v35
	v_fmac_f32_e32 v36, v37, v34
	v_fma_f32 v33, -v33, v36, v35
	v_div_fmas_f32 v33, v33, v34, v36
	v_div_fixup_f32 v33, v33, v18, 1.0
.LBB7_31:
	s_or_b64 exec, exec, s[0:1]
	v_and_b32_e32 v34, 0xffff0000, v19
	v_cmp_o_f32_e32 vcc, v34, v34
	v_mov_b32_e32 v19, 0
	v_mov_b32_e32 v18, 0
	s_and_saveexec_b64 s[0:1], vcc
	s_cbranch_execz .LBB7_33
; %bb.32:
	v_mul_f32_e32 v18, 0xbfb8aa3b, v34
	s_mov_b32 s2, 0xbfb8aa3b
	v_rndne_f32_e32 v35, v18
	v_sub_f32_e32 v36, v18, v35
	v_fma_f32 v18, v34, s2, -v18
	v_fmac_f32_e32 v18, 0xb2a5705f, v34
	v_add_f32_e32 v18, v36, v18
	v_exp_f32_e32 v18, v18
	v_cvt_i32_f32_e32 v35, v35
	s_mov_b32 s2, 0x42ce8ed0
	v_cmp_nlt_f32_e32 vcc, s2, v34
	s_mov_b32 s2, 0xc2b17218
	v_ldexp_f32 v18, v18, v35
	v_cndmask_b32_e32 v18, 0, v18, vcc
	v_mov_b32_e32 v35, 0x7f800000
	v_cmp_ngt_f32_e32 vcc, s2, v34
	v_cndmask_b32_e32 v18, v35, v18, vcc
	v_add_f32_e32 v18, 1.0, v18
	v_div_scale_f32 v34, s[2:3], v18, v18, 1.0
	v_rcp_f32_e32 v35, v34
	v_fma_f32 v36, -v34, v35, 1.0
	v_fmac_f32_e32 v35, v36, v35
	v_div_scale_f32 v36, vcc, 1.0, v18, 1.0
	v_mul_f32_e32 v37, v36, v35
	v_fma_f32 v38, -v34, v37, v36
	v_fmac_f32_e32 v37, v38, v35
	v_fma_f32 v34, -v34, v37, v36
	v_div_fmas_f32 v34, v34, v35, v37
	v_div_fixup_f32 v18, v34, v18, 1.0
.LBB7_33:
	s_or_b64 exec, exec, s[0:1]
	v_lshlrev_b32_e32 v34, 16, v12
	v_cmp_o_f32_e32 vcc, v34, v34
	s_and_saveexec_b64 s[0:1], vcc
	s_cbranch_execz .LBB7_35
; %bb.34:
	v_mul_f32_e32 v19, 0xbfb8aa3b, v34
	s_mov_b32 s2, 0xbfb8aa3b
	v_rndne_f32_e32 v35, v19
	v_sub_f32_e32 v36, v19, v35
	v_fma_f32 v19, v34, s2, -v19
	v_fmac_f32_e32 v19, 0xb2a5705f, v34
	v_add_f32_e32 v19, v36, v19
	v_exp_f32_e32 v19, v19
	v_cvt_i32_f32_e32 v35, v35
	s_mov_b32 s2, 0x42ce8ed0
	v_cmp_nlt_f32_e32 vcc, s2, v34
	s_mov_b32 s2, 0xc2b17218
	v_ldexp_f32 v19, v19, v35
	v_cndmask_b32_e32 v19, 0, v19, vcc
	v_mov_b32_e32 v35, 0x7f800000
	v_cmp_ngt_f32_e32 vcc, s2, v34
	v_cndmask_b32_e32 v19, v35, v19, vcc
	v_add_f32_e32 v19, 1.0, v19
	v_div_scale_f32 v34, s[2:3], v19, v19, 1.0
	v_rcp_f32_e32 v35, v34
	v_fma_f32 v36, -v34, v35, 1.0
	v_fmac_f32_e32 v35, v36, v35
	v_div_scale_f32 v36, vcc, 1.0, v19, 1.0
	v_mul_f32_e32 v37, v36, v35
	v_fma_f32 v38, -v34, v37, v36
	v_fmac_f32_e32 v37, v38, v35
	v_fma_f32 v34, -v34, v37, v36
	v_div_fmas_f32 v34, v34, v35, v37
	v_div_fixup_f32 v19, v34, v19, 1.0
.LBB7_35:
	s_or_b64 exec, exec, s[0:1]
	v_and_b32_e32 v12, 0xffff0000, v12
	v_cmp_o_f32_e32 vcc, v12, v12
	v_mov_b32_e32 v35, 0
	v_mov_b32_e32 v34, 0
	s_and_saveexec_b64 s[0:1], vcc
	s_cbranch_execz .LBB7_37
; %bb.36:
	v_mul_f32_e32 v34, 0xbfb8aa3b, v12
	s_mov_b32 s2, 0xbfb8aa3b
	v_rndne_f32_e32 v36, v34
	v_sub_f32_e32 v37, v34, v36
	v_fma_f32 v34, v12, s2, -v34
	v_fmac_f32_e32 v34, 0xb2a5705f, v12
	v_add_f32_e32 v34, v37, v34
	v_exp_f32_e32 v34, v34
	v_cvt_i32_f32_e32 v36, v36
	s_mov_b32 s2, 0x42ce8ed0
	v_cmp_nlt_f32_e32 vcc, s2, v12
	s_mov_b32 s2, 0xc2b17218
	v_ldexp_f32 v34, v34, v36
	v_cndmask_b32_e32 v34, 0, v34, vcc
	v_mov_b32_e32 v36, 0x7f800000
	v_cmp_ngt_f32_e32 vcc, s2, v12
	v_cndmask_b32_e32 v12, v36, v34, vcc
	v_add_f32_e32 v12, 1.0, v12
	v_div_scale_f32 v34, s[2:3], v12, v12, 1.0
	v_rcp_f32_e32 v36, v34
	v_fma_f32 v37, -v34, v36, 1.0
	v_fmac_f32_e32 v36, v37, v36
	v_div_scale_f32 v37, vcc, 1.0, v12, 1.0
	v_mul_f32_e32 v38, v37, v36
	v_fma_f32 v39, -v34, v38, v37
	v_fmac_f32_e32 v38, v39, v36
	v_fma_f32 v34, -v34, v38, v37
	v_div_fmas_f32 v34, v34, v36, v38
	v_div_fixup_f32 v34, v34, v12, 1.0
.LBB7_37:
	s_or_b64 exec, exec, s[0:1]
	v_lshlrev_b32_e32 v12, 16, v13
	v_cmp_o_f32_e32 vcc, v12, v12
	s_and_saveexec_b64 s[0:1], vcc
	s_cbranch_execz .LBB7_39
; %bb.38:
	v_mul_f32_e32 v35, 0xbfb8aa3b, v12
	s_mov_b32 s2, 0xbfb8aa3b
	v_rndne_f32_e32 v36, v35
	v_sub_f32_e32 v37, v35, v36
	v_fma_f32 v35, v12, s2, -v35
	v_fmac_f32_e32 v35, 0xb2a5705f, v12
	v_add_f32_e32 v35, v37, v35
	v_exp_f32_e32 v35, v35
	v_cvt_i32_f32_e32 v36, v36
	s_mov_b32 s2, 0x42ce8ed0
	v_cmp_nlt_f32_e32 vcc, s2, v12
	s_mov_b32 s2, 0xc2b17218
	v_ldexp_f32 v35, v35, v36
	v_cndmask_b32_e32 v35, 0, v35, vcc
	v_mov_b32_e32 v36, 0x7f800000
	v_cmp_ngt_f32_e32 vcc, s2, v12
	v_cndmask_b32_e32 v12, v36, v35, vcc
	v_add_f32_e32 v12, 1.0, v12
	v_div_scale_f32 v35, s[2:3], v12, v12, 1.0
	v_rcp_f32_e32 v36, v35
	v_fma_f32 v37, -v35, v36, 1.0
	v_fmac_f32_e32 v36, v37, v36
	v_div_scale_f32 v37, vcc, 1.0, v12, 1.0
	v_mul_f32_e32 v38, v37, v36
	v_fma_f32 v39, -v35, v38, v37
	v_fmac_f32_e32 v38, v39, v36
	v_fma_f32 v35, -v35, v38, v37
	v_div_fmas_f32 v35, v35, v36, v38
	v_div_fixup_f32 v35, v35, v12, 1.0
.LBB7_39:
	s_or_b64 exec, exec, s[0:1]
	v_and_b32_e32 v36, 0xffff0000, v13
	v_cmp_o_f32_e32 vcc, v36, v36
	v_mov_b32_e32 v13, 0
	v_mov_b32_e32 v12, 0
	s_and_saveexec_b64 s[0:1], vcc
	s_cbranch_execz .LBB7_41
; %bb.40:
	v_mul_f32_e32 v12, 0xbfb8aa3b, v36
	s_mov_b32 s2, 0xbfb8aa3b
	v_rndne_f32_e32 v37, v12
	v_sub_f32_e32 v38, v12, v37
	v_fma_f32 v12, v36, s2, -v12
	v_fmac_f32_e32 v12, 0xb2a5705f, v36
	v_add_f32_e32 v12, v38, v12
	v_exp_f32_e32 v12, v12
	v_cvt_i32_f32_e32 v37, v37
	s_mov_b32 s2, 0x42ce8ed0
	v_cmp_nlt_f32_e32 vcc, s2, v36
	s_mov_b32 s2, 0xc2b17218
	v_ldexp_f32 v12, v12, v37
	v_cndmask_b32_e32 v12, 0, v12, vcc
	v_mov_b32_e32 v37, 0x7f800000
	v_cmp_ngt_f32_e32 vcc, s2, v36
	v_cndmask_b32_e32 v12, v37, v12, vcc
	v_add_f32_e32 v12, 1.0, v12
	v_div_scale_f32 v36, s[2:3], v12, v12, 1.0
	v_rcp_f32_e32 v37, v36
	v_fma_f32 v38, -v36, v37, 1.0
	v_fmac_f32_e32 v37, v38, v37
	v_div_scale_f32 v38, vcc, 1.0, v12, 1.0
	v_mul_f32_e32 v39, v38, v37
	v_fma_f32 v40, -v36, v39, v38
	v_fmac_f32_e32 v39, v40, v37
	v_fma_f32 v36, -v36, v39, v38
	v_div_fmas_f32 v36, v36, v37, v39
	v_div_fixup_f32 v12, v36, v12, 1.0
.LBB7_41:
	s_or_b64 exec, exec, s[0:1]
	v_lshlrev_b32_e32 v36, 16, v14
	v_cmp_o_f32_e32 vcc, v36, v36
	s_and_saveexec_b64 s[0:1], vcc
	s_cbranch_execz .LBB7_43
; %bb.42:
	v_mul_f32_e32 v13, 0xbfb8aa3b, v36
	s_mov_b32 s2, 0xbfb8aa3b
	v_rndne_f32_e32 v37, v13
	v_sub_f32_e32 v38, v13, v37
	v_fma_f32 v13, v36, s2, -v13
	v_fmac_f32_e32 v13, 0xb2a5705f, v36
	v_add_f32_e32 v13, v38, v13
	v_exp_f32_e32 v13, v13
	v_cvt_i32_f32_e32 v37, v37
	s_mov_b32 s2, 0x42ce8ed0
	v_cmp_nlt_f32_e32 vcc, s2, v36
	s_mov_b32 s2, 0xc2b17218
	v_ldexp_f32 v13, v13, v37
	v_cndmask_b32_e32 v13, 0, v13, vcc
	v_mov_b32_e32 v37, 0x7f800000
	v_cmp_ngt_f32_e32 vcc, s2, v36
	v_cndmask_b32_e32 v13, v37, v13, vcc
	v_add_f32_e32 v13, 1.0, v13
	v_div_scale_f32 v36, s[2:3], v13, v13, 1.0
	v_rcp_f32_e32 v37, v36
	v_fma_f32 v38, -v36, v37, 1.0
	v_fmac_f32_e32 v37, v38, v37
	v_div_scale_f32 v38, vcc, 1.0, v13, 1.0
	v_mul_f32_e32 v39, v38, v37
	v_fma_f32 v40, -v36, v39, v38
	v_fmac_f32_e32 v39, v40, v37
	v_fma_f32 v36, -v36, v39, v38
	v_div_fmas_f32 v36, v36, v37, v39
	v_div_fixup_f32 v13, v36, v13, 1.0
.LBB7_43:
	s_or_b64 exec, exec, s[0:1]
	v_and_b32_e32 v14, 0xffff0000, v14
	v_cmp_o_f32_e32 vcc, v14, v14
	v_mov_b32_e32 v37, 0
	v_mov_b32_e32 v36, 0
	s_and_saveexec_b64 s[0:1], vcc
	s_cbranch_execz .LBB7_45
; %bb.44:
	v_mul_f32_e32 v36, 0xbfb8aa3b, v14
	s_mov_b32 s2, 0xbfb8aa3b
	v_rndne_f32_e32 v38, v36
	v_sub_f32_e32 v39, v36, v38
	v_fma_f32 v36, v14, s2, -v36
	v_fmac_f32_e32 v36, 0xb2a5705f, v14
	v_add_f32_e32 v36, v39, v36
	v_exp_f32_e32 v36, v36
	v_cvt_i32_f32_e32 v38, v38
	s_mov_b32 s2, 0x42ce8ed0
	v_cmp_nlt_f32_e32 vcc, s2, v14
	s_mov_b32 s2, 0xc2b17218
	v_ldexp_f32 v36, v36, v38
	v_cndmask_b32_e32 v36, 0, v36, vcc
	v_mov_b32_e32 v38, 0x7f800000
	v_cmp_ngt_f32_e32 vcc, s2, v14
	v_cndmask_b32_e32 v14, v38, v36, vcc
	v_add_f32_e32 v14, 1.0, v14
	v_div_scale_f32 v36, s[2:3], v14, v14, 1.0
	v_rcp_f32_e32 v38, v36
	v_fma_f32 v39, -v36, v38, 1.0
	v_fmac_f32_e32 v38, v39, v38
	v_div_scale_f32 v39, vcc, 1.0, v14, 1.0
	v_mul_f32_e32 v40, v39, v38
	v_fma_f32 v41, -v36, v40, v39
	v_fmac_f32_e32 v40, v41, v38
	v_fma_f32 v36, -v36, v40, v39
	v_div_fmas_f32 v36, v36, v38, v40
	v_div_fixup_f32 v36, v36, v14, 1.0
.LBB7_45:
	s_or_b64 exec, exec, s[0:1]
	v_lshlrev_b32_e32 v14, 16, v15
	v_cmp_o_f32_e32 vcc, v14, v14
	s_and_saveexec_b64 s[0:1], vcc
	s_cbranch_execz .LBB7_47
; %bb.46:
	v_mul_f32_e32 v37, 0xbfb8aa3b, v14
	s_mov_b32 s2, 0xbfb8aa3b
	v_rndne_f32_e32 v38, v37
	v_sub_f32_e32 v39, v37, v38
	v_fma_f32 v37, v14, s2, -v37
	v_fmac_f32_e32 v37, 0xb2a5705f, v14
	v_add_f32_e32 v37, v39, v37
	v_exp_f32_e32 v37, v37
	v_cvt_i32_f32_e32 v38, v38
	s_mov_b32 s2, 0x42ce8ed0
	v_cmp_nlt_f32_e32 vcc, s2, v14
	s_mov_b32 s2, 0xc2b17218
	v_ldexp_f32 v37, v37, v38
	v_cndmask_b32_e32 v37, 0, v37, vcc
	v_mov_b32_e32 v38, 0x7f800000
	v_cmp_ngt_f32_e32 vcc, s2, v14
	v_cndmask_b32_e32 v14, v38, v37, vcc
	v_add_f32_e32 v14, 1.0, v14
	v_div_scale_f32 v37, s[2:3], v14, v14, 1.0
	v_rcp_f32_e32 v38, v37
	v_fma_f32 v39, -v37, v38, 1.0
	v_fmac_f32_e32 v38, v39, v38
	v_div_scale_f32 v39, vcc, 1.0, v14, 1.0
	v_mul_f32_e32 v40, v39, v38
	v_fma_f32 v41, -v37, v40, v39
	v_fmac_f32_e32 v40, v41, v38
	v_fma_f32 v37, -v37, v40, v39
	v_div_fmas_f32 v37, v37, v38, v40
	v_div_fixup_f32 v37, v37, v14, 1.0
.LBB7_47:
	s_or_b64 exec, exec, s[0:1]
	v_and_b32_e32 v14, 0xffff0000, v15
	v_cmp_o_f32_e32 vcc, v14, v14
	v_mov_b32_e32 v55, 0
	s_and_saveexec_b64 s[0:1], vcc
	s_cbranch_execz .LBB7_49
; %bb.48:
	v_mul_f32_e32 v15, 0xbfb8aa3b, v14
	s_mov_b32 s2, 0xbfb8aa3b
	v_rndne_f32_e32 v38, v15
	v_sub_f32_e32 v39, v15, v38
	v_fma_f32 v15, v14, s2, -v15
	v_fmac_f32_e32 v15, 0xb2a5705f, v14
	v_add_f32_e32 v15, v39, v15
	v_exp_f32_e32 v15, v15
	v_cvt_i32_f32_e32 v38, v38
	s_mov_b32 s2, 0x42ce8ed0
	v_cmp_nlt_f32_e32 vcc, s2, v14
	s_mov_b32 s2, 0xc2b17218
	v_ldexp_f32 v15, v15, v38
	v_cndmask_b32_e32 v15, 0, v15, vcc
	v_mov_b32_e32 v38, 0x7f800000
	v_cmp_ngt_f32_e32 vcc, s2, v14
	v_cndmask_b32_e32 v14, v38, v15, vcc
	v_add_f32_e32 v14, 1.0, v14
	v_div_scale_f32 v15, s[2:3], v14, v14, 1.0
	v_rcp_f32_e32 v38, v15
	v_fma_f32 v39, -v15, v38, 1.0
	v_fmac_f32_e32 v38, v39, v38
	v_div_scale_f32 v39, vcc, 1.0, v14, 1.0
	v_mul_f32_e32 v40, v39, v38
	v_fma_f32 v41, -v15, v40, v39
	v_fmac_f32_e32 v40, v41, v38
	v_fma_f32 v15, -v15, v40, v39
	v_div_fmas_f32 v15, v15, v38, v40
	v_div_fixup_f32 v55, v15, v14, 1.0
.LBB7_49:
	s_or_b64 exec, exec, s[0:1]
	s_waitcnt vmcnt(0)
	v_lshlrev_b32_e32 v38, 16, v8
	v_and_b32_e32 v14, 0xffff0000, v8
	v_lshlrev_b32_e32 v15, 16, v9
	v_add_f32_e32 v56, v54, v38
	v_pk_add_f32 v[14:15], v[26:27], v[14:15]
	v_max_f32_e32 v38, 0xff7fffff, v56
	s_mov_b32 s2, 0xff7fffff
	v_cmp_ngt_f32_e32 vcc, v14, v38
	v_mov_b32_e32 v8, v38
	v_mov_b32_e32 v40, v14
	s_and_saveexec_b64 s[0:1], vcc
	s_cbranch_execz .LBB7_53
; %bb.50:
	v_cmp_lt_f32_e32 vcc, s2, v14
	v_mov_b32_e32 v8, 0xff7fffff
	s_and_saveexec_b64 s[2:3], vcc
; %bb.51:
	v_mov_b32_e32 v8, v14
; %bb.52:
	s_or_b64 exec, exec, s[2:3]
	v_mov_b32_e32 v40, v38
.LBB7_53:
	s_or_b64 exec, exec, s[0:1]
	v_cmp_ngt_f32_e32 vcc, v15, v40
	v_mov_b32_e32 v39, v40
	v_mov_b32_e32 v38, v15
	s_and_saveexec_b64 s[0:1], vcc
	s_cbranch_execz .LBB7_57
; %bb.54:
	v_cmp_gt_f32_e32 vcc, v15, v8
	s_and_saveexec_b64 s[2:3], vcc
; %bb.55:
	v_mov_b32_e32 v8, v15
; %bb.56:
	s_or_b64 exec, exec, s[2:3]
	v_mov_b32_e32 v39, v8
	v_mov_b32_e32 v38, v40
.LBB7_57:
	s_or_b64 exec, exec, s[0:1]
	v_and_b32_e32 v8, 0xffff0000, v9
	v_lshlrev_b32_e32 v9, 16, v10
	v_pk_add_f32 v[8:9], v[20:21], v[8:9]
	v_cmp_ngt_f32_e32 vcc, v8, v38
	v_mov_b32_e32 v43, v38
	v_mov_b32_e32 v42, v8
	s_and_saveexec_b64 s[0:1], vcc
	s_cbranch_execz .LBB7_61
; %bb.58:
	v_cmp_gt_f32_e32 vcc, v8, v39
	s_and_saveexec_b64 s[2:3], vcc
; %bb.59:
	v_mov_b32_e32 v39, v8
; %bb.60:
	s_or_b64 exec, exec, s[2:3]
	v_mov_b32_e32 v43, v39
	v_mov_b32_e32 v42, v38
.LBB7_61:
	s_or_b64 exec, exec, s[0:1]
	v_cmp_ngt_f32_e32 vcc, v9, v42
	v_mov_b32_e32 v41, v42
	v_mov_b32_e32 v40, v9
	s_and_saveexec_b64 s[0:1], vcc
	s_cbranch_execz .LBB7_65
; %bb.62:
	v_cmp_gt_f32_e32 vcc, v9, v43
	s_and_saveexec_b64 s[2:3], vcc
; %bb.63:
	v_mov_b32_e32 v43, v9
; %bb.64:
	s_or_b64 exec, exec, s[2:3]
	v_mov_b32_e32 v41, v43
	v_mov_b32_e32 v40, v42
.LBB7_65:
	s_or_b64 exec, exec, s[0:1]
	v_and_b32_e32 v38, 0xffff0000, v10
	v_lshlrev_b32_e32 v39, 16, v11
	v_pk_add_f32 v[38:39], v[28:29], v[38:39]
	v_cmp_ngt_f32_e32 vcc, v38, v40
	v_mov_b32_e32 v42, v40
	v_mov_b32_e32 v10, v38
	s_and_saveexec_b64 s[0:1], vcc
	s_cbranch_execz .LBB7_69
; %bb.66:
	v_cmp_gt_f32_e32 vcc, v38, v41
	s_and_saveexec_b64 s[2:3], vcc
; %bb.67:
	v_mov_b32_e32 v41, v38
; %bb.68:
	s_or_b64 exec, exec, s[2:3]
	v_mov_b32_e32 v42, v41
	v_mov_b32_e32 v10, v40
.LBB7_69:
	s_or_b64 exec, exec, s[0:1]
	v_cmp_ngt_f32_e32 vcc, v39, v10
	v_mov_b32_e32 v41, v10
	v_mov_b32_e32 v40, v39
	s_and_saveexec_b64 s[0:1], vcc
	s_cbranch_execz .LBB7_73
; %bb.70:
	v_cmp_gt_f32_e32 vcc, v39, v42
	s_and_saveexec_b64 s[2:3], vcc
; %bb.71:
	v_mov_b32_e32 v42, v39
; %bb.72:
	s_or_b64 exec, exec, s[2:3]
	v_mov_b32_e32 v41, v42
	v_mov_b32_e32 v40, v10
.LBB7_73:
	s_or_b64 exec, exec, s[0:1]
	v_and_b32_e32 v10, 0xffff0000, v11
	v_lshlrev_b32_e32 v11, 16, v4
	v_pk_add_f32 v[10:11], v[22:23], v[10:11]
	v_cmp_ngt_f32_e32 vcc, v10, v40
	v_mov_b32_e32 v45, v40
	v_mov_b32_e32 v44, v10
	s_and_saveexec_b64 s[0:1], vcc
	s_cbranch_execz .LBB7_77
; %bb.74:
	v_cmp_gt_f32_e32 vcc, v10, v41
	s_and_saveexec_b64 s[2:3], vcc
; %bb.75:
	v_mov_b32_e32 v41, v10
; %bb.76:
	s_or_b64 exec, exec, s[2:3]
	v_mov_b32_e32 v45, v41
	v_mov_b32_e32 v44, v40
.LBB7_77:
	s_or_b64 exec, exec, s[0:1]
	v_cmp_ngt_f32_e32 vcc, v11, v44
	v_mov_b32_e32 v43, v44
	v_mov_b32_e32 v42, v11
	s_and_saveexec_b64 s[0:1], vcc
	s_cbranch_execz .LBB7_81
; %bb.78:
	v_cmp_gt_f32_e32 vcc, v11, v45
	s_and_saveexec_b64 s[2:3], vcc
; %bb.79:
	v_mov_b32_e32 v45, v11
; %bb.80:
	s_or_b64 exec, exec, s[2:3]
	v_mov_b32_e32 v43, v45
	v_mov_b32_e32 v42, v44
.LBB7_81:
	s_or_b64 exec, exec, s[0:1]
	v_and_b32_e32 v40, 0xffff0000, v4
	v_lshlrev_b32_e32 v41, 16, v5
	v_pk_add_f32 v[40:41], v[30:31], v[40:41]
	v_cmp_ngt_f32_e32 vcc, v40, v42
	v_mov_b32_e32 v44, v42
	v_mov_b32_e32 v4, v40
	s_and_saveexec_b64 s[0:1], vcc
	s_cbranch_execz .LBB7_85
; %bb.82:
	v_cmp_gt_f32_e32 vcc, v40, v43
	s_and_saveexec_b64 s[2:3], vcc
; %bb.83:
	v_mov_b32_e32 v43, v40
; %bb.84:
	s_or_b64 exec, exec, s[2:3]
	v_mov_b32_e32 v44, v43
	v_mov_b32_e32 v4, v42
.LBB7_85:
	s_or_b64 exec, exec, s[0:1]
	v_cmp_ngt_f32_e32 vcc, v41, v4
	v_mov_b32_e32 v43, v4
	v_mov_b32_e32 v42, v41
	s_and_saveexec_b64 s[0:1], vcc
	s_cbranch_execz .LBB7_89
; %bb.86:
	v_cmp_gt_f32_e32 vcc, v41, v44
	s_and_saveexec_b64 s[2:3], vcc
; %bb.87:
	v_mov_b32_e32 v44, v41
; %bb.88:
	s_or_b64 exec, exec, s[2:3]
	v_mov_b32_e32 v43, v44
	v_mov_b32_e32 v42, v4
.LBB7_89:
	s_or_b64 exec, exec, s[0:1]
	v_and_b32_e32 v4, 0xffff0000, v5
	v_lshlrev_b32_e32 v5, 16, v6
	v_pk_add_f32 v[4:5], v[16:17], v[4:5]
	v_cmp_ngt_f32_e32 vcc, v4, v42
	v_mov_b32_e32 v47, v42
	v_mov_b32_e32 v46, v4
	s_and_saveexec_b64 s[0:1], vcc
	s_cbranch_execz .LBB7_93
; %bb.90:
	v_cmp_gt_f32_e32 vcc, v4, v43
	s_and_saveexec_b64 s[2:3], vcc
; %bb.91:
	v_mov_b32_e32 v43, v4
; %bb.92:
	s_or_b64 exec, exec, s[2:3]
	v_mov_b32_e32 v47, v43
	v_mov_b32_e32 v46, v42
.LBB7_93:
	s_or_b64 exec, exec, s[0:1]
	v_cmp_ngt_f32_e32 vcc, v5, v46
	v_mov_b32_e32 v45, v46
	v_mov_b32_e32 v44, v5
	s_and_saveexec_b64 s[0:1], vcc
	s_cbranch_execz .LBB7_97
; %bb.94:
	v_cmp_gt_f32_e32 vcc, v5, v47
	s_and_saveexec_b64 s[2:3], vcc
; %bb.95:
	v_mov_b32_e32 v47, v5
; %bb.96:
	s_or_b64 exec, exec, s[2:3]
	v_mov_b32_e32 v45, v47
	v_mov_b32_e32 v44, v46
.LBB7_97:
	s_or_b64 exec, exec, s[0:1]
	v_and_b32_e32 v42, 0xffff0000, v6
	v_lshlrev_b32_e32 v43, 16, v7
	v_pk_add_f32 v[42:43], v[32:33], v[42:43]
	v_cmp_ngt_f32_e32 vcc, v42, v44
	v_mov_b32_e32 v48, v44
	v_mov_b32_e32 v47, v42
	s_and_saveexec_b64 s[0:1], vcc
	s_cbranch_execz .LBB7_101
; %bb.98:
	v_cmp_gt_f32_e32 vcc, v42, v45
	s_and_saveexec_b64 s[2:3], vcc
; %bb.99:
	v_mov_b32_e32 v45, v42
; %bb.100:
	s_or_b64 exec, exec, s[2:3]
	v_mov_b32_e32 v48, v45
	v_mov_b32_e32 v47, v44
.LBB7_101:
	s_or_b64 exec, exec, s[0:1]
	v_cmp_ngt_f32_e32 vcc, v43, v47
	v_mov_b32_e32 v46, v47
	v_mov_b32_e32 v6, v43
	s_and_saveexec_b64 s[0:1], vcc
	s_cbranch_execz .LBB7_105
; %bb.102:
	v_cmp_gt_f32_e32 vcc, v43, v48
	s_and_saveexec_b64 s[2:3], vcc
; %bb.103:
	v_mov_b32_e32 v48, v43
; %bb.104:
	s_or_b64 exec, exec, s[2:3]
	v_mov_b32_e32 v46, v48
	v_mov_b32_e32 v6, v47
.LBB7_105:
	s_or_b64 exec, exec, s[0:1]
	v_and_b32_e32 v44, 0xffff0000, v7
	v_lshlrev_b32_e32 v45, 16, v0
	v_pk_add_f32 v[44:45], v[18:19], v[44:45]
	v_cmp_ngt_f32_e32 vcc, v44, v6
	v_mov_b32_e32 v48, v6
	v_mov_b32_e32 v47, v44
	s_and_saveexec_b64 s[0:1], vcc
	s_cbranch_execz .LBB7_109
; %bb.106:
	v_cmp_gt_f32_e32 vcc, v44, v46
	s_and_saveexec_b64 s[2:3], vcc
; %bb.107:
	v_mov_b32_e32 v46, v44
; %bb.108:
	s_or_b64 exec, exec, s[2:3]
	v_mov_b32_e32 v48, v46
	v_mov_b32_e32 v47, v6
.LBB7_109:
	s_or_b64 exec, exec, s[0:1]
	v_cmp_ngt_f32_e32 vcc, v45, v47
	v_mov_b32_e32 v7, v47
	v_mov_b32_e32 v6, v45
	s_and_saveexec_b64 s[0:1], vcc
	s_cbranch_execz .LBB7_113
; %bb.110:
	v_cmp_gt_f32_e32 vcc, v45, v48
	s_and_saveexec_b64 s[2:3], vcc
; %bb.111:
	v_mov_b32_e32 v48, v45
; %bb.112:
	s_or_b64 exec, exec, s[2:3]
	v_mov_b32_e32 v7, v48
	v_mov_b32_e32 v6, v47
.LBB7_113:
	s_or_b64 exec, exec, s[0:1]
	v_and_b32_e32 v46, 0xffff0000, v0
	v_lshlrev_b32_e32 v47, 16, v1
	v_pk_add_f32 v[46:47], v[34:35], v[46:47]
	v_cmp_ngt_f32_e32 vcc, v46, v6
	v_mov_b32_e32 v48, v6
	v_mov_b32_e32 v0, v46
	s_and_saveexec_b64 s[0:1], vcc
	s_cbranch_execz .LBB7_117
; %bb.114:
	v_cmp_gt_f32_e32 vcc, v46, v7
	s_and_saveexec_b64 s[2:3], vcc
; %bb.115:
	v_mov_b32_e32 v7, v46
; %bb.116:
	s_or_b64 exec, exec, s[2:3]
	v_mov_b32_e32 v48, v7
	v_mov_b32_e32 v0, v6
.LBB7_117:
	s_or_b64 exec, exec, s[0:1]
	v_cmp_ngt_f32_e32 vcc, v47, v0
	v_mov_b32_e32 v7, v0
	v_mov_b32_e32 v6, v47
	s_and_saveexec_b64 s[0:1], vcc
	s_cbranch_execz .LBB7_121
; %bb.118:
	v_cmp_gt_f32_e32 vcc, v47, v48
	s_and_saveexec_b64 s[2:3], vcc
; %bb.119:
	v_mov_b32_e32 v48, v47
; %bb.120:
	s_or_b64 exec, exec, s[2:3]
	v_mov_b32_e32 v7, v48
	v_mov_b32_e32 v6, v0
.LBB7_121:
	s_or_b64 exec, exec, s[0:1]
	v_and_b32_e32 v0, 0xffff0000, v1
	v_lshlrev_b32_e32 v1, 16, v2
	v_pk_add_f32 v[0:1], v[12:13], v[0:1]
	v_cmp_ngt_f32_e32 vcc, v0, v6
	v_mov_b32_e32 v49, v6
	v_mov_b32_e32 v48, v0
	s_and_saveexec_b64 s[0:1], vcc
	s_cbranch_execz .LBB7_125
; %bb.122:
	v_cmp_gt_f32_e32 vcc, v0, v7
	s_and_saveexec_b64 s[2:3], vcc
; %bb.123:
	v_mov_b32_e32 v7, v0
; %bb.124:
	s_or_b64 exec, exec, s[2:3]
	v_mov_b32_e32 v49, v7
	v_mov_b32_e32 v48, v6
.LBB7_125:
	s_or_b64 exec, exec, s[0:1]
	v_cmp_ngt_f32_e32 vcc, v1, v48
	v_mov_b32_e32 v7, v48
	v_mov_b32_e32 v6, v1
	s_and_saveexec_b64 s[0:1], vcc
	s_cbranch_execz .LBB7_129
; %bb.126:
	v_cmp_gt_f32_e32 vcc, v1, v49
	s_and_saveexec_b64 s[2:3], vcc
; %bb.127:
	v_mov_b32_e32 v49, v1
; %bb.128:
	s_or_b64 exec, exec, s[2:3]
	v_mov_b32_e32 v7, v49
	v_mov_b32_e32 v6, v48
.LBB7_129:
	s_or_b64 exec, exec, s[0:1]
	v_and_b32_e32 v48, 0xffff0000, v2
	v_lshlrev_b32_e32 v49, 16, v3
	v_pk_add_f32 v[48:49], v[36:37], v[48:49]
	v_cmp_ngt_f32_e32 vcc, v48, v6
	v_mov_b32_e32 v57, v6
	v_mov_b32_e32 v51, v48
	s_and_saveexec_b64 s[0:1], vcc
	s_cbranch_execz .LBB7_133
; %bb.130:
	v_cmp_gt_f32_e32 vcc, v48, v7
	s_and_saveexec_b64 s[2:3], vcc
; %bb.131:
	v_mov_b32_e32 v7, v48
; %bb.132:
	s_or_b64 exec, exec, s[2:3]
	v_mov_b32_e32 v57, v7
	v_mov_b32_e32 v51, v6
.LBB7_133:
	s_or_b64 exec, exec, s[0:1]
	v_cmp_ngt_f32_e32 vcc, v49, v51
	v_mov_b32_e32 v6, v51
	v_mov_b32_e32 v2, v49
	s_and_saveexec_b64 s[0:1], vcc
	s_cbranch_execz .LBB7_137
; %bb.134:
	v_cmp_gt_f32_e32 vcc, v49, v57
	s_and_saveexec_b64 s[2:3], vcc
; %bb.135:
	v_mov_b32_e32 v57, v49
; %bb.136:
	s_or_b64 exec, exec, s[2:3]
	v_mov_b32_e32 v6, v57
	v_mov_b32_e32 v2, v51
.LBB7_137:
	s_or_b64 exec, exec, s[0:1]
	v_and_b32_e32 v3, 0xffff0000, v3
	v_add_f32_e32 v58, v55, v3
	v_cmp_ngt_f32_e32 vcc, v58, v2
	v_mov_b32_e32 v3, v2
	v_mov_b32_e32 v7, v58
	s_and_saveexec_b64 s[0:1], vcc
	s_cbranch_execz .LBB7_141
; %bb.138:
	v_cmp_gt_f32_e32 vcc, v58, v6
	s_and_saveexec_b64 s[2:3], vcc
; %bb.139:
	v_mov_b32_e32 v6, v58
; %bb.140:
	s_or_b64 exec, exec, s[2:3]
	v_mov_b32_e32 v3, v6
	v_mov_b32_e32 v7, v2
.LBB7_141:
	s_or_b64 exec, exec, s[0:1]
	v_cmp_lt_i64_e64 s[0:1], s[58:59], 8
	s_and_b64 vcc, exec, s[0:1]
	s_cbranch_vccz .LBB7_144
; %bb.142:
	s_sub_u32 s6, 8, s58
	s_subb_u32 s7, 0, s59
	v_add_f32_e32 v2, v3, v7
	s_mov_b64 s[8:9], 0
	s_mov_b32 s10, 0x2aaaaaab
	v_mov_b32_e32 v3, 0x7f7fffff
.LBB7_143:                              ; =>This Inner Loop Header: Depth=1
	v_mov_b32_dpp v6, v53 quad_perm:[1,0,3,2] row_mask:0xf bank_mask:0xf
	v_mov_b32_dpp v7, v2 quad_perm:[1,0,3,2] row_mask:0xf bank_mask:0xf
	v_cmp_eq_f32_e64 s[0:1], v2, v7
	v_cmp_lt_i32_e64 s[2:3], v53, v6
	v_cmp_lt_f32_e32 vcc, v2, v7
	s_and_b64 s[0:1], s[2:3], s[0:1]
	s_or_b64 vcc, vcc, s[0:1]
	v_cndmask_b32_e32 v7, v7, v2, vcc
	v_cndmask_b32_e32 v6, v6, v53, vcc
	s_nop 0
	v_mov_b32_dpp v57, v7 quad_perm:[2,3,0,1] row_mask:0xf bank_mask:0xf
	v_mov_b32_dpp v51, v6 quad_perm:[2,3,0,1] row_mask:0xf bank_mask:0xf
	v_cmp_eq_f32_e32 vcc, v7, v57
	v_cmp_lt_i32_e64 s[0:1], v6, v51
	s_and_b64 vcc, vcc, s[0:1]
	v_cmp_lt_f32_e64 s[0:1], v7, v57
	v_cndmask_b32_e32 v59, v57, v7, vcc
	s_or_b64 vcc, s[0:1], vcc
	v_cndmask_b32_e64 v7, v59, v7, s[0:1]
	v_cndmask_b32_e32 v6, v51, v6, vcc
	s_add_u32 s8, s8, 1
	v_mov_b32_dpp v57, v7 row_half_mirror row_mask:0xf bank_mask:0xf
	v_mov_b32_dpp v51, v6 row_half_mirror row_mask:0xf bank_mask:0xf
	v_min_i32_e32 v59, v6, v51
	v_cmp_eq_f32_e32 vcc, v7, v57
	v_cndmask_b32_e32 v51, v51, v59, vcc
	v_cmp_lt_f32_e32 vcc, v7, v57
	v_cndmask_b32_e32 v6, v51, v6, vcc
	v_mul_hi_i32 v6, v6, s10
	v_lshrrev_b32_e32 v7, 31, v6
	v_ashrrev_i32_e32 v6, 2, v6
	v_add_u32_e32 v6, v6, v7
	s_addc_u32 s9, s9, 0
	v_cmp_eq_u32_e32 vcc, v52, v6
	v_pk_mov_b32 v[6:7], s[8:9], s[8:9] op_sel:[0,1]
	v_cndmask_b32_e32 v56, v56, v3, vcc
	v_cndmask_b32_e32 v2, v2, v3, vcc
	v_cmp_le_i64_e32 vcc, s[6:7], v[6:7]
	s_cbranch_vccz .LBB7_143
.LBB7_144:
	s_sub_u32 s56, s60, s62
	s_subb_u32 s57, s61, s63
	s_mov_b64 s[0:1], src_shared_base
	s_cmp_lg_u32 0, -1
	s_cselect_b32 s0, s1, 0
	s_cselect_b32 s1, 0, 0
	s_add_u32 s1, s1, 0xff
	s_addc_u32 s0, s0, 0
	s_and_b32 s1, s1, 0xffffff00
	v_mov_b32_e32 v2, s1
	v_mov_b32_e32 v3, s0
	v_lshlrev_b32_e32 v50, 2, v50
	v_mad_u64_u32 v[6:7], s[0:1], v50, s60, v[2:3]
	s_load_dword s33, s[4:5], 0x48
	v_mov_b32_e32 v2, v7
	v_mad_u64_u32 v[2:3], s[0:1], v50, s61, v[2:3]
	v_cmp_lt_i64_e64 s[0:1], s[56:57], 1
	v_mov_b32_e32 v7, v2
	s_and_b64 vcc, exec, s[0:1]
	v_cmp_eq_u32_e64 s[0:1], 0, v52
	s_cbranch_vccnz .LBB7_155
; %bb.145:
	s_waitcnt lgkmcnt(0)
	v_mad_u64_u32 v[2:3], s[2:3], s33, v24, 0
	s_ashr_i32 s6, s33, 31
	v_mov_b32_e32 v50, v3
	v_mad_u64_u32 v[50:51], s[2:3], s6, v24, v[50:51]
	v_mov_b32_e32 v3, v50
	v_lshlrev_b64 v[2:3], 2, v[2:3]
	v_mov_b32_e32 v50, s55
	v_add_co_u32_e32 v2, vcc, s54, v2
	v_addc_co_u32_e32 v3, vcc, v50, v3, vcc
	v_add_u32_e32 v59, 8, v53
	v_add_u32_e32 v60, 9, v53
	;; [unrolled: 1-line block ×16, first 2 shown]
	s_mov_b64 s[58:59], 0
	v_mov_b32_e32 v57, 0
	s_mov_b32 s68, 0x7f7fffff
	s_mov_b32 s69, 0x2aaaaaab
	v_mov_b32_e32 v75, 0xff7fffff
	v_pk_mov_b32 v[50:51], v[6:7], v[6:7] op_sel:[0,1]
	s_branch .LBB7_147
.LBB7_146:                              ;   in Loop: Header=BB7_147 Depth=1
	s_or_b64 exec, exec, s[2:3]
	v_add_co_u32_e32 v2, vcc, 4, v2
	s_add_u32 s58, s58, 1
	v_addc_co_u32_e32 v3, vcc, 0, v3, vcc
	s_addc_u32 s59, s59, 0
	v_add_co_u32_e32 v50, vcc, 4, v50
	v_addc_co_u32_e32 v51, vcc, 0, v51, vcc
	v_pk_mov_b32 v[76:77], s[58:59], s[58:59] op_sel:[0,1]
	v_cmp_le_i64_e32 vcc, s[56:57], v[76:77]
	s_cbranch_vccnz .LBB7_156
.LBB7_147:                              ; =>This Inner Loop Header: Depth=1
	v_cmp_neq_f32_e32 vcc, s68, v56
	v_mov_b32_e32 v76, 0xff7fffff
	v_mov_b32_e32 v77, v53
	s_and_saveexec_b64 s[2:3], vcc
	s_cbranch_execz .LBB7_149
; %bb.148:                              ;   in Loop: Header=BB7_147 Depth=1
	v_cmp_gt_f32_e32 vcc, v14, v56
	v_cndmask_b32_e32 v76, v56, v14, vcc
	v_cndmask_b32_e64 v77, 0, 1, vcc
	v_cmp_gt_f32_e32 vcc, v15, v76
	v_cndmask_b32_e32 v76, v76, v15, vcc
	v_cndmask_b32_e64 v77, v77, 2, vcc
	v_cmp_gt_f32_e32 vcc, v8, v76
	v_cndmask_b32_e32 v76, v76, v8, vcc
	v_cndmask_b32_e64 v77, v77, 3, vcc
	v_cmp_gt_f32_e32 vcc, v9, v76
	v_cndmask_b32_e32 v76, v76, v9, vcc
	v_cndmask_b32_e64 v77, v77, 4, vcc
	v_cmp_gt_f32_e32 vcc, v38, v76
	v_cndmask_b32_e32 v76, v76, v38, vcc
	v_cndmask_b32_e64 v77, v77, 5, vcc
	v_cmp_gt_f32_e32 vcc, v39, v76
	v_cndmask_b32_e32 v76, v76, v39, vcc
	v_cndmask_b32_e64 v77, v77, 6, vcc
	v_cmp_gt_f32_e32 vcc, v10, v76
	v_cndmask_b32_e32 v76, v76, v10, vcc
	v_cndmask_b32_e64 v77, v77, 7, vcc
	v_cmp_gt_f32_e32 vcc, v11, v76
	v_or_b32_e32 v77, v77, v53
	v_cndmask_b32_e32 v76, v76, v11, vcc
	v_cndmask_b32_e32 v77, v77, v59, vcc
	v_cmp_gt_f32_e32 vcc, v40, v76
	v_cndmask_b32_e32 v76, v76, v40, vcc
	v_cndmask_b32_e32 v77, v77, v60, vcc
	v_cmp_gt_f32_e32 vcc, v41, v76
	;; [unrolled: 3-line block ×15, first 2 shown]
	v_cndmask_b32_e32 v76, v76, v58, vcc
	v_cndmask_b32_e32 v77, v77, v74, vcc
.LBB7_149:                              ;   in Loop: Header=BB7_147 Depth=1
	s_or_b64 exec, exec, s[2:3]
	s_nop 0
	v_mov_b32_dpp v78, v77 quad_perm:[1,0,3,2] row_mask:0xf bank_mask:0xf
	v_mov_b32_dpp v79, v76 quad_perm:[1,0,3,2] row_mask:0xf bank_mask:0xf
	v_cmp_eq_f32_e64 s[2:3], v76, v79
	v_cmp_lt_i32_e64 s[6:7], v77, v78
	v_cmp_gt_f32_e32 vcc, v76, v79
	s_and_b64 s[2:3], s[2:3], s[6:7]
	s_or_b64 vcc, vcc, s[2:3]
	v_cndmask_b32_e32 v76, v79, v76, vcc
	v_cndmask_b32_e32 v77, v78, v77, vcc
	s_nop 0
	v_mov_b32_dpp v79, v76 quad_perm:[2,3,0,1] row_mask:0xf bank_mask:0xf
	v_mov_b32_dpp v78, v77 quad_perm:[2,3,0,1] row_mask:0xf bank_mask:0xf
	v_cmp_eq_f32_e32 vcc, v76, v79
	v_cmp_lt_i32_e64 s[2:3], v77, v78
	s_and_b64 vcc, vcc, s[2:3]
	v_cmp_gt_f32_e64 s[2:3], v76, v79
	v_cndmask_b32_e32 v80, v79, v76, vcc
	s_or_b64 vcc, s[2:3], vcc
	v_cndmask_b32_e64 v76, v80, v76, s[2:3]
	v_cndmask_b32_e32 v77, v78, v77, vcc
	s_nop 0
	v_mov_b32_dpp v79, v76 row_half_mirror row_mask:0xf bank_mask:0xf
	v_mov_b32_dpp v78, v77 row_half_mirror row_mask:0xf bank_mask:0xf
	v_min_i32_e32 v80, v77, v78
	v_cmp_eq_f32_e32 vcc, v76, v79
	v_cndmask_b32_e32 v78, v78, v80, vcc
	v_cmp_gt_f32_e32 vcc, v76, v79
	v_cndmask_b32_e32 v76, v78, v77, vcc
	v_mul_hi_i32 v77, v76, s69
	v_lshrrev_b32_e32 v78, 31, v77
	v_ashrrev_i32_e32 v77, 2, v77
	v_add_u32_e32 v77, v77, v78
	v_cmp_eq_u32_e32 vcc, v52, v77
	s_and_saveexec_b64 s[64:65], vcc
	s_cbranch_execz .LBB7_153
; %bb.150:                              ;   in Loop: Header=BB7_147 Depth=1
	v_sub_u32_e32 v77, v76, v53
	v_cmp_eq_u32_e64 s[46:47], 2, v77
	v_cmp_eq_u32_e64 s[48:49], 1, v77
	;; [unrolled: 1-line block ×22, first 2 shown]
	v_cmp_eq_u32_e32 vcc, 23, v77
	v_cmp_gt_u32_e64 s[50:51], 24, v77
	s_and_saveexec_b64 s[66:67], s[50:51]
	s_cbranch_execz .LBB7_152
; %bb.151:                              ;   in Loop: Header=BB7_147 Depth=1
	v_cndmask_b32_e64 v78, v54, v26, s[48:49]
	v_cndmask_b32_e64 v78, v78, v27, s[46:47]
	;; [unrolled: 1-line block ×22, first 2 shown]
	v_cndmask_b32_e32 v78, v78, v55, vcc
	flat_store_dword v[50:51], v78
.LBB7_152:                              ;   in Loop: Header=BB7_147 Depth=1
	s_or_b64 exec, exec, s[66:67]
	v_cmp_ne_u32_e64 s[50:51], 0, v77
	v_cndmask_b32_e64 v56, v75, v56, s[50:51]
	v_cndmask_b32_e64 v15, v15, v75, s[46:47]
	;; [unrolled: 1-line block ×23, first 2 shown]
	v_cndmask_b32_e32 v58, v58, v75, vcc
	global_store_dword v[2:3], v76, off
.LBB7_153:                              ;   in Loop: Header=BB7_147 Depth=1
	s_or_b64 exec, exec, s[64:65]
	s_waitcnt lgkmcnt(0)
	s_barrier
	s_and_saveexec_b64 s[2:3], s[0:1]
	s_cbranch_execz .LBB7_146
; %bb.154:                              ;   in Loop: Header=BB7_147 Depth=1
	flat_load_dword v76, v[50:51]
	s_waitcnt vmcnt(0) lgkmcnt(0)
	v_add_f32_e32 v57, v57, v76
	s_branch .LBB7_146
.LBB7_155:
	v_mov_b32_e32 v57, 0
.LBB7_156:
	v_cmp_eq_u32_e64 s[0:1], 0, v52
	v_cmp_gt_i64_e64 s[2:3], s[62:63], 0
	s_and_b64 s[6:7], s[0:1], s[2:3]
	s_and_saveexec_b64 s[2:3], s[6:7]
	s_cbranch_execz .LBB7_169
; %bb.157:
	v_cmp_le_u64_e32 vcc, s[62:63], v[24:25]
	v_pk_mov_b32 v[0:1], v[24:25], v[24:25] op_sel:[0,1]
	s_and_saveexec_b64 s[6:7], vcc
	s_cbranch_execz .LBB7_159
; %bb.158:
	v_cvt_f32_u32_e32 v0, s62
	s_sub_i32 s8, 0, s62
	v_rcp_iflag_f32_e32 v0, v0
	v_mul_f32_e32 v0, 0x4f7ffffe, v0
	v_cvt_u32_f32_e32 v0, v0
	v_mul_lo_u32 v1, s8, v0
	v_mul_hi_u32 v1, v0, v1
	v_add_u32_e32 v0, v0, v1
	v_mul_hi_u32 v0, v24, v0
	v_mul_lo_u32 v0, v0, s62
	v_sub_u32_e32 v0, v24, v0
	v_subrev_u32_e32 v1, s62, v0
	v_cmp_le_u32_e32 vcc, s62, v0
	v_cndmask_b32_e32 v0, v0, v1, vcc
	v_subrev_u32_e32 v1, s62, v0
	v_cmp_le_u32_e32 vcc, s62, v0
	v_cndmask_b32_e32 v0, v0, v1, vcc
	v_mov_b32_e32 v1, 0
.LBB7_159:
	s_or_b64 exec, exec, s[6:7]
	s_load_dwordx2 s[4:5], s[4:5], 0x40
	v_pk_mov_b32 v[2:3], s[56:57], s[56:57] op_sel:[0,1]
	s_waitcnt lgkmcnt(0)
	v_mad_u64_u32 v[10:11], s[6:7], s33, v24, v[2:3]
	s_ashr_i32 s8, s33, 31
	v_mov_b32_e32 v2, v11
	v_cvt_f64_f32_e32 v[8:9], v57
	v_mad_u64_u32 v[2:3], s[6:7], s8, v24, v[2:3]
	v_div_scale_f64 v[12:13], s[6:7], s[4:5], s[4:5], v[8:9]
	v_mov_b32_e32 v11, v2
	v_rcp_f64_e32 v[14:15], v[12:13]
	v_lshlrev_b64 v[2:3], 2, v[10:11]
	v_mov_b32_e32 v5, s55
	v_add_co_u32_e32 v4, vcc, s54, v2
	v_add_u32_e32 v16, 0xc0, v0
	v_addc_co_u32_e32 v5, vcc, v5, v3, vcc
	global_store_dword v[4:5], v16, off
	v_fma_f64 v[16:17], -v[12:13], v[14:15], 1.0
	v_fmac_f64_e32 v[14:15], v[14:15], v[16:17]
	v_fma_f64 v[16:17], -v[12:13], v[14:15], 1.0
	v_fmac_f64_e32 v[14:15], v[14:15], v[16:17]
	v_div_scale_f64 v[16:17], vcc, v[8:9], s[4:5], v[8:9]
	v_mul_f64 v[18:19], v[16:17], v[14:15]
	v_fma_f64 v[12:13], -v[12:13], v[18:19], v[16:17]
	s_nop 1
	v_div_fmas_f64 v[12:13], v[12:13], v[14:15], v[18:19]
	v_div_fixup_f64 v[8:9], v[12:13], s[4:5], v[8:9]
	v_cvt_f32_f64_e32 v8, v[8:9]
	v_mov_b32_e32 v9, s53
	v_add_co_u32_e32 v14, vcc, s52, v2
	v_addc_co_u32_e32 v15, vcc, v9, v3, vcc
	v_cmp_lt_u64_e64 s[4:5], s[62:63], 2
	s_and_b64 vcc, exec, s[4:5]
	global_store_dword v[14:15], v8, off
	s_cbranch_vccnz .LBB7_169
; %bb.160:
	s_cmp_eq_u64 s[62:63], 2
	s_cbranch_scc1 .LBB7_165
; %bb.161:
	v_add_co_u32_e32 v2, vcc, 1, v0
	v_addc_co_u32_e32 v3, vcc, 0, v1, vcc
	s_add_u32 s4, s62, -1
	v_add_co_u32_e32 v12, vcc, 4, v4
	s_addc_u32 s5, s63, -1
	v_addc_co_u32_e32 v13, vcc, 0, v5, vcc
	s_and_b32 s6, s4, -2
	s_mov_b32 s7, s5
	v_add_co_u32_e32 v14, vcc, 4, v14
	v_pk_mov_b32 v[4:5], v[2:3], v[2:3] op_sel:[0,1]
	v_mov_b32_e32 v9, v8
	v_addc_co_u32_e32 v15, vcc, 0, v15, vcc
	s_mov_b64 s[8:9], s[6:7]
	v_pk_mov_b32 v[2:3], v[0:1], v[0:1] op_sel:[0,1]
.LBB7_162:                              ; =>This Inner Loop Header: Depth=1
	v_add_u32_e32 v17, 0xc1, v4
	v_add_co_u32_e32 v4, vcc, 2, v4
	v_addc_co_u32_e32 v5, vcc, 0, v5, vcc
	v_add_u32_e32 v16, 0xc1, v2
	v_add_co_u32_e32 v2, vcc, 2, v2
	v_addc_co_u32_e32 v3, vcc, 0, v3, vcc
	global_store_dwordx2 v[14:15], v[8:9], off
	v_add_co_u32_e32 v14, vcc, 8, v14
	v_addc_co_u32_e32 v15, vcc, 0, v15, vcc
	s_add_u32 s8, s8, -2
	global_store_dwordx2 v[12:13], v[16:17], off
	s_addc_u32 s9, s9, -1
	v_add_co_u32_e32 v12, vcc, 8, v12
	s_cmp_lg_u64 s[8:9], 0
	v_addc_co_u32_e32 v13, vcc, 0, v13, vcc
	s_cbranch_scc1 .LBB7_162
; %bb.163:
	s_cmp_eq_u64 s[4:5], s[6:7]
	s_cbranch_scc1 .LBB7_166
; %bb.164:
	v_mov_b32_e32 v1, s7
	v_add_co_u32_e32 v10, vcc, s6, v10
	s_or_b32 s4, s4, 1
	v_add_u32_e32 v0, s6, v0
	v_addc_co_u32_e32 v11, vcc, v11, v1, vcc
	s_cbranch_execnz .LBB7_167
	s_branch .LBB7_169
.LBB7_165:
	s_mov_b32 s4, 1
	s_cbranch_execnz .LBB7_167
	s_branch .LBB7_169
.LBB7_166:
	s_mov_b32 s4, 1
                                        ; implicit-def: $vgpr10_vgpr11
                                        ; implicit-def: $vgpr0
	s_branch .LBB7_169
.LBB7_167:
	v_add_u32_e32 v9, 0xc1, v0
	v_lshlrev_b64 v[0:1], 2, v[10:11]
	v_add_co_u32_e32 v2, vcc, 4, v0
	v_addc_co_u32_e32 v3, vcc, 0, v1, vcc
	v_mov_b32_e32 v1, s53
	v_add_co_u32_e32 v0, vcc, s52, v2
	v_addc_co_u32_e32 v1, vcc, v1, v3, vcc
	v_mov_b32_e32 v4, s55
	v_add_co_u32_e32 v2, vcc, s54, v2
	s_mov_b32 s5, 0
	v_addc_co_u32_e32 v3, vcc, v4, v3, vcc
	v_pk_mov_b32 v[4:5], s[62:63], s[62:63] op_sel:[0,1]
.LBB7_168:                              ; =>This Inner Loop Header: Depth=1
	global_store_dword v[2:3], v9, off
	global_store_dword v[0:1], v8, off
	v_add_co_u32_e32 v0, vcc, 4, v0
	v_addc_co_u32_e32 v1, vcc, 0, v1, vcc
	s_add_u32 s4, s4, 1
	v_add_co_u32_e32 v2, vcc, 4, v2
	v_addc_co_u32_e32 v3, vcc, 0, v3, vcc
	s_addc_u32 s5, s5, 0
	v_cmp_lt_u64_e32 vcc, s[4:5], v[4:5]
	v_add_u32_e32 v9, 1, v9
	s_cbranch_vccnz .LBB7_168
.LBB7_169:
	s_or_b64 exec, exec, s[2:3]
	v_cmp_gt_i64_e64 s[4:5], s[60:61], 0
	s_mov_b64 s[2:3], 0
	s_and_b64 s[0:1], s[0:1], s[4:5]
	s_waitcnt lgkmcnt(0)
	s_barrier
	s_and_b64 exec, exec, s[0:1]
	s_cbranch_execz .LBB7_176
; %bb.170:
	v_mad_u64_u32 v[0:1], s[0:1], s33, v24, 0
	s_ashr_i32 s4, s33, 31
	v_mov_b32_e32 v2, v1
	v_mad_u64_u32 v[2:3], s[0:1], s4, v24, v[2:3]
	v_mov_b32_e32 v1, v2
	v_lshlrev_b64 v[0:1], 2, v[0:1]
	v_mov_b32_e32 v2, s53
	v_add_co_u32_e32 v4, vcc, s52, v0
	v_addc_co_u32_e32 v5, vcc, v2, v1, vcc
	v_cmp_lt_u64_e64 s[0:1], s[60:61], 8
	s_and_b64 vcc, exec, s[0:1]
	s_cbranch_vccnz .LBB7_173
; %bb.171:
	s_and_b32 s3, s61, 0x7fffffff
	s_and_b32 s2, s60, -8
	s_mov_b64 s[0:1], 0
	s_mov_b64 s[4:5], s[2:3]
.LBB7_172:                              ; =>This Inner Loop Header: Depth=1
	v_mov_b32_e32 v1, s1
	v_add_co_u32_e32 v2, vcc, s0, v6
	v_addc_co_u32_e32 v3, vcc, v7, v1, vcc
	flat_load_dword v8, v[2:3]
	v_add_co_u32_e32 v0, vcc, s0, v4
	v_addc_co_u32_e32 v1, vcc, v5, v1, vcc
	s_add_u32 s0, s0, 32
	s_addc_u32 s1, s1, 0
	s_add_u32 s4, s4, -8
	s_addc_u32 s5, s5, -1
	s_cmp_lg_u64 s[4:5], 0
	s_waitcnt vmcnt(0) lgkmcnt(0)
	v_div_scale_f32 v9, s[6:7], v57, v57, v8
	v_rcp_f32_e32 v11, v9
	v_div_scale_f32 v10, vcc, v8, v57, v8
	v_fma_f32 v12, -v9, v11, 1.0
	v_fmac_f32_e32 v11, v12, v11
	v_mul_f32_e32 v12, v10, v11
	v_fma_f32 v13, -v9, v12, v10
	v_fmac_f32_e32 v12, v13, v11
	v_fma_f32 v9, -v9, v12, v10
	v_div_fmas_f32 v9, v9, v11, v12
	v_div_fixup_f32 v8, v9, v57, v8
	global_store_dword v[0:1], v8, off
	flat_load_dword v8, v[2:3] offset:4
	s_waitcnt vmcnt(0) lgkmcnt(0)
	v_div_scale_f32 v9, s[6:7], v57, v57, v8
	v_rcp_f32_e32 v11, v9
	v_div_scale_f32 v10, vcc, v8, v57, v8
	v_fma_f32 v12, -v9, v11, 1.0
	v_fmac_f32_e32 v11, v12, v11
	v_mul_f32_e32 v12, v10, v11
	v_fma_f32 v13, -v9, v12, v10
	v_fmac_f32_e32 v12, v13, v11
	v_fma_f32 v9, -v9, v12, v10
	v_div_fmas_f32 v9, v9, v11, v12
	v_div_fixup_f32 v8, v9, v57, v8
	global_store_dword v[0:1], v8, off offset:4
	flat_load_dword v8, v[2:3] offset:8
	s_waitcnt vmcnt(0) lgkmcnt(0)
	v_div_scale_f32 v9, s[6:7], v57, v57, v8
	v_rcp_f32_e32 v11, v9
	v_div_scale_f32 v10, vcc, v8, v57, v8
	v_fma_f32 v12, -v9, v11, 1.0
	v_fmac_f32_e32 v11, v12, v11
	v_mul_f32_e32 v12, v10, v11
	v_fma_f32 v13, -v9, v12, v10
	v_fmac_f32_e32 v12, v13, v11
	v_fma_f32 v9, -v9, v12, v10
	v_div_fmas_f32 v9, v9, v11, v12
	v_div_fixup_f32 v8, v9, v57, v8
	global_store_dword v[0:1], v8, off offset:8
	;; [unrolled: 14-line block ×7, first 2 shown]
	s_cbranch_scc1 .LBB7_172
.LBB7_173:
	s_and_b32 s0, s60, 7
	s_mov_b32 s1, 0
	s_cmp_eq_u64 s[0:1], 0
	s_cbranch_scc1 .LBB7_176
; %bb.174:
	s_mov_b64 s[4:5], s[0:1]
.LBB7_175:                              ; =>This Inner Loop Header: Depth=1
	s_lshl_b64 s[6:7], s[2:3], 2
	v_mov_b32_e32 v2, s7
	v_add_co_u32_e32 v0, vcc, s6, v6
	v_addc_co_u32_e32 v1, vcc, v7, v2, vcc
	flat_load_dword v3, v[0:1]
	v_add_co_u32_e32 v0, vcc, s6, v4
	v_addc_co_u32_e32 v1, vcc, v5, v2, vcc
	s_add_i32 s0, s2, 1
	s_add_u32 s4, s4, -1
	s_addc_u32 s5, s5, -1
	s_mov_b64 s[2:3], s[0:1]
	s_cmp_lg_u64 s[4:5], 0
	s_waitcnt vmcnt(0) lgkmcnt(0)
	v_div_scale_f32 v2, s[6:7], v57, v57, v3
	v_rcp_f32_e32 v8, v2
	v_div_scale_f32 v9, vcc, v3, v57, v3
	v_fma_f32 v10, -v2, v8, 1.0
	v_fmac_f32_e32 v8, v10, v8
	v_mul_f32_e32 v10, v9, v8
	v_fma_f32 v11, -v2, v10, v9
	v_fmac_f32_e32 v10, v11, v8
	v_fma_f32 v2, -v2, v10, v9
	v_div_fmas_f32 v2, v2, v8, v10
	v_div_fixup_f32 v2, v2, v57, v3
	global_store_dword v[0:1], v2, off
	s_cbranch_scc1 .LBB7_175
.LBB7_176:
	s_endpgm
	.section	.rodata,"a",@progbits
	.p2align	6, 0x0
	.amdhsa_kernel _Z21moe_fused_gate_kernelItLi24ELi192ELi8ELi1EEvPvS0_PfPilllldi
		.amdhsa_group_segment_fixed_size 0
		.amdhsa_private_segment_fixed_size 0
		.amdhsa_kernarg_size 76
		.amdhsa_user_sgpr_count 6
		.amdhsa_user_sgpr_private_segment_buffer 1
		.amdhsa_user_sgpr_dispatch_ptr 0
		.amdhsa_user_sgpr_queue_ptr 0
		.amdhsa_user_sgpr_kernarg_segment_ptr 1
		.amdhsa_user_sgpr_dispatch_id 0
		.amdhsa_user_sgpr_flat_scratch_init 0
		.amdhsa_user_sgpr_kernarg_preload_length 0
		.amdhsa_user_sgpr_kernarg_preload_offset 0
		.amdhsa_user_sgpr_private_segment_size 0
		.amdhsa_uses_dynamic_stack 0
		.amdhsa_system_sgpr_private_segment_wavefront_offset 0
		.amdhsa_system_sgpr_workgroup_id_x 1
		.amdhsa_system_sgpr_workgroup_id_y 0
		.amdhsa_system_sgpr_workgroup_id_z 0
		.amdhsa_system_sgpr_workgroup_info 0
		.amdhsa_system_vgpr_workitem_id 1
		.amdhsa_next_free_vgpr 81
		.amdhsa_next_free_sgpr 70
		.amdhsa_accum_offset 84
		.amdhsa_reserve_vcc 1
		.amdhsa_reserve_flat_scratch 0
		.amdhsa_float_round_mode_32 0
		.amdhsa_float_round_mode_16_64 0
		.amdhsa_float_denorm_mode_32 3
		.amdhsa_float_denorm_mode_16_64 3
		.amdhsa_dx10_clamp 1
		.amdhsa_ieee_mode 1
		.amdhsa_fp16_overflow 0
		.amdhsa_tg_split 0
		.amdhsa_exception_fp_ieee_invalid_op 0
		.amdhsa_exception_fp_denorm_src 0
		.amdhsa_exception_fp_ieee_div_zero 0
		.amdhsa_exception_fp_ieee_overflow 0
		.amdhsa_exception_fp_ieee_underflow 0
		.amdhsa_exception_fp_ieee_inexact 0
		.amdhsa_exception_int_div_zero 0
	.end_amdhsa_kernel
	.section	.text._Z21moe_fused_gate_kernelItLi24ELi192ELi8ELi1EEvPvS0_PfPilllldi,"axG",@progbits,_Z21moe_fused_gate_kernelItLi24ELi192ELi8ELi1EEvPvS0_PfPilllldi,comdat
.Lfunc_end7:
	.size	_Z21moe_fused_gate_kernelItLi24ELi192ELi8ELi1EEvPvS0_PfPilllldi, .Lfunc_end7-_Z21moe_fused_gate_kernelItLi24ELi192ELi8ELi1EEvPvS0_PfPilllldi
                                        ; -- End function
	.section	.AMDGPU.csdata,"",@progbits
; Kernel info:
; codeLenInByte = 9844
; NumSgprs: 74
; NumVgprs: 81
; NumAgprs: 0
; TotalNumVgprs: 81
; ScratchSize: 0
; MemoryBound: 1
; FloatMode: 240
; IeeeMode: 1
; LDSByteSize: 0 bytes/workgroup (compile time only)
; SGPRBlocks: 9
; VGPRBlocks: 10
; NumSGPRsForWavesPerEU: 74
; NumVGPRsForWavesPerEU: 81
; AccumOffset: 84
; Occupancy: 5
; WaveLimiterHint : 0
; COMPUTE_PGM_RSRC2:SCRATCH_EN: 0
; COMPUTE_PGM_RSRC2:USER_SGPR: 6
; COMPUTE_PGM_RSRC2:TRAP_HANDLER: 0
; COMPUTE_PGM_RSRC2:TGID_X_EN: 1
; COMPUTE_PGM_RSRC2:TGID_Y_EN: 0
; COMPUTE_PGM_RSRC2:TGID_Z_EN: 0
; COMPUTE_PGM_RSRC2:TIDIG_COMP_CNT: 1
; COMPUTE_PGM_RSRC3_GFX90A:ACCUM_OFFSET: 20
; COMPUTE_PGM_RSRC3_GFX90A:TG_SPLIT: 0
	.section	.text._Z21moe_fused_gate_kernelIDF16_Li24ELi192ELi8ELi1EEvPvS0_PfPilllldi,"axG",@progbits,_Z21moe_fused_gate_kernelIDF16_Li24ELi192ELi8ELi1EEvPvS0_PfPilllldi,comdat
	.protected	_Z21moe_fused_gate_kernelIDF16_Li24ELi192ELi8ELi1EEvPvS0_PfPilllldi ; -- Begin function _Z21moe_fused_gate_kernelIDF16_Li24ELi192ELi8ELi1EEvPvS0_PfPilllldi
	.globl	_Z21moe_fused_gate_kernelIDF16_Li24ELi192ELi8ELi1EEvPvS0_PfPilllldi
	.p2align	8
	.type	_Z21moe_fused_gate_kernelIDF16_Li24ELi192ELi8ELi1EEvPvS0_PfPilllldi,@function
_Z21moe_fused_gate_kernelIDF16_Li24ELi192ELi8ELi1EEvPvS0_PfPilllldi: ; @_Z21moe_fused_gate_kernelIDF16_Li24ELi192ELi8ELi1EEvPvS0_PfPilllldi
; %bb.0:
	s_load_dwordx16 s[48:63], s[4:5], 0x0
	v_and_b32_e32 v1, 0x3ff, v0
	v_bfe_u32 v0, v0, 10, 10
	v_add_u32_e32 v0, s6, v0
	v_lshrrev_b32_e32 v48, 3, v1
	v_mov_b32_e32 v54, 0
	v_lshl_add_u32 v24, v0, 3, v48
	v_mov_b32_e32 v25, v54
	s_waitcnt lgkmcnt(0)
	v_cmp_gt_i64_e32 vcc, s[56:57], v[24:25]
	s_and_saveexec_b64 s[0:1], vcc
	s_cbranch_execz .LBB8_176
; %bb.1:
	v_and_b32_e32 v52, 7, v1
	v_mov_b32_e32 v2, s48
	v_mov_b32_e32 v3, s49
	s_movk_i32 s0, 0x180
	v_mul_u32_u24_e32 v53, 24, v52
	v_mad_u64_u32 v[2:3], s[0:1], v24, s0, v[2:3]
	v_lshlrev_b32_e32 v28, 1, v53
	v_add_co_u32_e32 v26, vcc, v2, v28
	v_addc_co_u32_e32 v27, vcc, 0, v3, vcc
	global_load_dwordx4 v[12:15], v[26:27], off offset:32
	global_load_dwordx4 v[16:19], v[26:27], off offset:16
	global_load_dwordx4 v[20:23], v[26:27], off
	global_load_dwordx4 v[0:3], v28, s[50:51] offset:32
	global_load_dwordx4 v[4:7], v28, s[50:51] offset:16
	global_load_dwordx4 v[8:11], v28, s[50:51]
	s_waitcnt vmcnt(3)
	v_cmp_o_f16_e32 vcc, v20, v20
	s_and_saveexec_b64 s[0:1], vcc
	s_cbranch_execz .LBB8_3
; %bb.2:
	v_cvt_f32_f16_e64 v26, -v20
	s_mov_b32 s2, 0x3fb8aa3b
	s_mov_b32 s3, 0x32a5705f
	v_mul_f32_e32 v27, 0x3fb8aa3b, v26
	v_rndne_f32_e32 v28, v27
	v_fma_mix_f32 v29, -v20, s2, -v27 op_sel_hi:[1,0,0]
	v_sub_f32_e32 v27, v27, v28
	v_fma_mix_f32 v29, -v20, s3, v29 op_sel_hi:[1,0,0]
	v_add_f32_e32 v27, v27, v29
	v_cvt_i32_f32_e32 v28, v28
	v_exp_f32_e32 v27, v27
	s_mov_b32 s2, 0xc2ce8ed0
	v_cmp_ngt_f32_e32 vcc, s2, v26
	s_mov_b32 s2, 0x42b17218
	v_ldexp_f32 v27, v27, v28
	v_cndmask_b32_e32 v27, 0, v27, vcc
	v_mov_b32_e32 v28, 0x7f800000
	v_cmp_nlt_f32_e32 vcc, s2, v26
	v_cndmask_b32_e32 v26, v28, v27, vcc
	v_add_f32_e32 v26, 1.0, v26
	v_div_scale_f32 v27, s[2:3], v26, v26, 1.0
	v_rcp_f32_e32 v28, v27
	v_fma_f32 v29, -v27, v28, 1.0
	v_fmac_f32_e32 v28, v29, v28
	v_div_scale_f32 v29, vcc, 1.0, v26, 1.0
	v_mul_f32_e32 v30, v29, v28
	v_fma_f32 v31, -v27, v30, v29
	v_fmac_f32_e32 v30, v31, v28
	v_fma_f32 v27, -v27, v30, v29
	v_div_fmas_f32 v27, v27, v28, v30
	v_div_fixup_f32 v54, v27, v26, 1.0
.LBB8_3:
	s_or_b64 exec, exec, s[0:1]
	v_lshrrev_b32_e32 v26, 16, v20
	v_cmp_o_f16_e32 vcc, v26, v26
	v_mov_b32_e32 v20, 0
	v_mov_b32_e32 v55, 0
	s_and_saveexec_b64 s[0:1], vcc
	s_cbranch_execz .LBB8_5
; %bb.4:
	v_cvt_f32_f16_e64 v27, -v26
	s_mov_b32 s2, 0x3fb8aa3b
	s_mov_b32 s3, 0x32a5705f
	v_mul_f32_e32 v28, 0x3fb8aa3b, v27
	v_rndne_f32_e32 v29, v28
	v_fma_mix_f32 v30, -v26, s2, -v28 op_sel_hi:[1,0,0]
	v_sub_f32_e32 v28, v28, v29
	v_fma_mix_f32 v26, -v26, s3, v30 op_sel_hi:[1,0,0]
	v_add_f32_e32 v26, v28, v26
	v_cvt_i32_f32_e32 v28, v29
	v_exp_f32_e32 v26, v26
	s_mov_b32 s2, 0xc2ce8ed0
	v_cmp_ngt_f32_e32 vcc, s2, v27
	s_mov_b32 s2, 0x42b17218
	v_ldexp_f32 v26, v26, v28
	v_cndmask_b32_e32 v26, 0, v26, vcc
	v_mov_b32_e32 v28, 0x7f800000
	v_cmp_nlt_f32_e32 vcc, s2, v27
	v_cndmask_b32_e32 v26, v28, v26, vcc
	v_add_f32_e32 v26, 1.0, v26
	v_div_scale_f32 v27, s[2:3], v26, v26, 1.0
	v_rcp_f32_e32 v28, v27
	v_fma_f32 v29, -v27, v28, 1.0
	v_fmac_f32_e32 v28, v29, v28
	v_div_scale_f32 v29, vcc, 1.0, v26, 1.0
	v_mul_f32_e32 v30, v29, v28
	v_fma_f32 v31, -v27, v30, v29
	v_fmac_f32_e32 v30, v31, v28
	v_fma_f32 v27, -v27, v30, v29
	v_div_fmas_f32 v27, v27, v28, v30
	v_div_fixup_f32 v55, v27, v26, 1.0
.LBB8_5:
	s_or_b64 exec, exec, s[0:1]
	v_cmp_o_f16_e32 vcc, v21, v21
	s_and_saveexec_b64 s[0:1], vcc
	s_cbranch_execz .LBB8_7
; %bb.6:
	v_cvt_f32_f16_e64 v20, -v21
	s_mov_b32 s2, 0x3fb8aa3b
	s_mov_b32 s3, 0x32a5705f
	v_mul_f32_e32 v26, 0x3fb8aa3b, v20
	v_rndne_f32_e32 v27, v26
	v_fma_mix_f32 v28, -v21, s2, -v26 op_sel_hi:[1,0,0]
	v_sub_f32_e32 v26, v26, v27
	v_fma_mix_f32 v28, -v21, s3, v28 op_sel_hi:[1,0,0]
	v_add_f32_e32 v26, v26, v28
	v_cvt_i32_f32_e32 v27, v27
	v_exp_f32_e32 v26, v26
	s_mov_b32 s2, 0xc2ce8ed0
	v_cmp_ngt_f32_e32 vcc, s2, v20
	s_mov_b32 s2, 0x42b17218
	v_ldexp_f32 v26, v26, v27
	v_cndmask_b32_e32 v26, 0, v26, vcc
	v_mov_b32_e32 v27, 0x7f800000
	v_cmp_nlt_f32_e32 vcc, s2, v20
	v_cndmask_b32_e32 v20, v27, v26, vcc
	v_add_f32_e32 v20, 1.0, v20
	v_div_scale_f32 v26, s[2:3], v20, v20, 1.0
	v_rcp_f32_e32 v27, v26
	v_fma_f32 v28, -v26, v27, 1.0
	v_fmac_f32_e32 v27, v28, v27
	v_div_scale_f32 v28, vcc, 1.0, v20, 1.0
	v_mul_f32_e32 v29, v28, v27
	v_fma_f32 v30, -v26, v29, v28
	v_fmac_f32_e32 v29, v30, v27
	v_fma_f32 v26, -v26, v29, v28
	v_div_fmas_f32 v26, v26, v27, v29
	v_div_fixup_f32 v20, v26, v20, 1.0
.LBB8_7:
	s_or_b64 exec, exec, s[0:1]
	v_lshrrev_b32_e32 v27, 16, v21
	v_cmp_o_f16_e32 vcc, v27, v27
	v_mov_b32_e32 v26, 0
	v_mov_b32_e32 v21, 0
	s_and_saveexec_b64 s[0:1], vcc
	s_cbranch_execz .LBB8_9
; %bb.8:
	v_cvt_f32_f16_e64 v21, -v27
	s_mov_b32 s2, 0x3fb8aa3b
	s_mov_b32 s3, 0x32a5705f
	v_mul_f32_e32 v28, 0x3fb8aa3b, v21
	v_rndne_f32_e32 v29, v28
	v_fma_mix_f32 v30, -v27, s2, -v28 op_sel_hi:[1,0,0]
	v_sub_f32_e32 v28, v28, v29
	v_fma_mix_f32 v27, -v27, s3, v30 op_sel_hi:[1,0,0]
	v_add_f32_e32 v27, v28, v27
	v_cvt_i32_f32_e32 v28, v29
	v_exp_f32_e32 v27, v27
	s_mov_b32 s2, 0xc2ce8ed0
	v_cmp_ngt_f32_e32 vcc, s2, v21
	s_mov_b32 s2, 0x42b17218
	v_ldexp_f32 v27, v27, v28
	v_cndmask_b32_e32 v27, 0, v27, vcc
	v_mov_b32_e32 v28, 0x7f800000
	v_cmp_nlt_f32_e32 vcc, s2, v21
	v_cndmask_b32_e32 v21, v28, v27, vcc
	v_add_f32_e32 v21, 1.0, v21
	v_div_scale_f32 v27, s[2:3], v21, v21, 1.0
	v_rcp_f32_e32 v28, v27
	v_fma_f32 v29, -v27, v28, 1.0
	v_fmac_f32_e32 v28, v29, v28
	v_div_scale_f32 v29, vcc, 1.0, v21, 1.0
	v_mul_f32_e32 v30, v29, v28
	v_fma_f32 v31, -v27, v30, v29
	v_fmac_f32_e32 v30, v31, v28
	v_fma_f32 v27, -v27, v30, v29
	v_div_fmas_f32 v27, v27, v28, v30
	v_div_fixup_f32 v21, v27, v21, 1.0
.LBB8_9:
	s_or_b64 exec, exec, s[0:1]
	v_cmp_o_f16_e32 vcc, v22, v22
	s_and_saveexec_b64 s[0:1], vcc
	s_cbranch_execz .LBB8_11
; %bb.10:
	v_cvt_f32_f16_e64 v26, -v22
	s_mov_b32 s2, 0x3fb8aa3b
	s_mov_b32 s3, 0x32a5705f
	v_mul_f32_e32 v27, 0x3fb8aa3b, v26
	v_rndne_f32_e32 v28, v27
	v_fma_mix_f32 v29, -v22, s2, -v27 op_sel_hi:[1,0,0]
	v_sub_f32_e32 v27, v27, v28
	v_fma_mix_f32 v29, -v22, s3, v29 op_sel_hi:[1,0,0]
	v_add_f32_e32 v27, v27, v29
	v_cvt_i32_f32_e32 v28, v28
	v_exp_f32_e32 v27, v27
	s_mov_b32 s2, 0xc2ce8ed0
	v_cmp_ngt_f32_e32 vcc, s2, v26
	s_mov_b32 s2, 0x42b17218
	v_ldexp_f32 v27, v27, v28
	v_cndmask_b32_e32 v27, 0, v27, vcc
	v_mov_b32_e32 v28, 0x7f800000
	v_cmp_nlt_f32_e32 vcc, s2, v26
	v_cndmask_b32_e32 v26, v28, v27, vcc
	v_add_f32_e32 v26, 1.0, v26
	v_div_scale_f32 v27, s[2:3], v26, v26, 1.0
	v_rcp_f32_e32 v28, v27
	v_fma_f32 v29, -v27, v28, 1.0
	v_fmac_f32_e32 v28, v29, v28
	v_div_scale_f32 v29, vcc, 1.0, v26, 1.0
	v_mul_f32_e32 v30, v29, v28
	v_fma_f32 v31, -v27, v30, v29
	v_fmac_f32_e32 v30, v31, v28
	v_fma_f32 v27, -v27, v30, v29
	v_div_fmas_f32 v27, v27, v28, v30
	v_div_fixup_f32 v26, v27, v26, 1.0
.LBB8_11:
	s_or_b64 exec, exec, s[0:1]
	v_lshrrev_b32_e32 v28, 16, v22
	v_cmp_o_f16_e32 vcc, v28, v28
	v_mov_b32_e32 v22, 0
	v_mov_b32_e32 v27, 0
	s_and_saveexec_b64 s[0:1], vcc
	s_cbranch_execz .LBB8_13
; %bb.12:
	v_cvt_f32_f16_e64 v27, -v28
	s_mov_b32 s2, 0x3fb8aa3b
	s_mov_b32 s3, 0x32a5705f
	v_mul_f32_e32 v29, 0x3fb8aa3b, v27
	v_rndne_f32_e32 v30, v29
	v_fma_mix_f32 v31, -v28, s2, -v29 op_sel_hi:[1,0,0]
	v_sub_f32_e32 v29, v29, v30
	v_fma_mix_f32 v28, -v28, s3, v31 op_sel_hi:[1,0,0]
	v_add_f32_e32 v28, v29, v28
	v_cvt_i32_f32_e32 v29, v30
	v_exp_f32_e32 v28, v28
	s_mov_b32 s2, 0xc2ce8ed0
	v_cmp_ngt_f32_e32 vcc, s2, v27
	s_mov_b32 s2, 0x42b17218
	v_ldexp_f32 v28, v28, v29
	v_cndmask_b32_e32 v28, 0, v28, vcc
	v_mov_b32_e32 v29, 0x7f800000
	v_cmp_nlt_f32_e32 vcc, s2, v27
	v_cndmask_b32_e32 v27, v29, v28, vcc
	v_add_f32_e32 v27, 1.0, v27
	v_div_scale_f32 v28, s[2:3], v27, v27, 1.0
	v_rcp_f32_e32 v29, v28
	v_fma_f32 v30, -v28, v29, 1.0
	v_fmac_f32_e32 v29, v30, v29
	v_div_scale_f32 v30, vcc, 1.0, v27, 1.0
	v_mul_f32_e32 v31, v30, v29
	v_fma_f32 v32, -v28, v31, v30
	v_fmac_f32_e32 v31, v32, v29
	v_fma_f32 v28, -v28, v31, v30
	v_div_fmas_f32 v28, v28, v29, v31
	v_div_fixup_f32 v27, v28, v27, 1.0
.LBB8_13:
	s_or_b64 exec, exec, s[0:1]
	v_cmp_o_f16_e32 vcc, v23, v23
	s_and_saveexec_b64 s[0:1], vcc
	s_cbranch_execz .LBB8_15
; %bb.14:
	v_cvt_f32_f16_e64 v22, -v23
	s_mov_b32 s2, 0x3fb8aa3b
	s_mov_b32 s3, 0x32a5705f
	v_mul_f32_e32 v28, 0x3fb8aa3b, v22
	v_rndne_f32_e32 v29, v28
	v_fma_mix_f32 v30, -v23, s2, -v28 op_sel_hi:[1,0,0]
	v_sub_f32_e32 v28, v28, v29
	v_fma_mix_f32 v30, -v23, s3, v30 op_sel_hi:[1,0,0]
	v_add_f32_e32 v28, v28, v30
	v_cvt_i32_f32_e32 v29, v29
	v_exp_f32_e32 v28, v28
	s_mov_b32 s2, 0xc2ce8ed0
	v_cmp_ngt_f32_e32 vcc, s2, v22
	s_mov_b32 s2, 0x42b17218
	v_ldexp_f32 v28, v28, v29
	v_cndmask_b32_e32 v28, 0, v28, vcc
	v_mov_b32_e32 v29, 0x7f800000
	v_cmp_nlt_f32_e32 vcc, s2, v22
	v_cndmask_b32_e32 v22, v29, v28, vcc
	v_add_f32_e32 v22, 1.0, v22
	v_div_scale_f32 v28, s[2:3], v22, v22, 1.0
	v_rcp_f32_e32 v29, v28
	v_fma_f32 v30, -v28, v29, 1.0
	v_fmac_f32_e32 v29, v30, v29
	v_div_scale_f32 v30, vcc, 1.0, v22, 1.0
	v_mul_f32_e32 v31, v30, v29
	v_fma_f32 v32, -v28, v31, v30
	v_fmac_f32_e32 v31, v32, v29
	v_fma_f32 v28, -v28, v31, v30
	v_div_fmas_f32 v28, v28, v29, v31
	v_div_fixup_f32 v22, v28, v22, 1.0
.LBB8_15:
	s_or_b64 exec, exec, s[0:1]
	v_lshrrev_b32_e32 v29, 16, v23
	v_cmp_o_f16_e32 vcc, v29, v29
	v_mov_b32_e32 v28, 0
	v_mov_b32_e32 v23, 0
	s_and_saveexec_b64 s[0:1], vcc
	s_cbranch_execz .LBB8_17
; %bb.16:
	v_cvt_f32_f16_e64 v23, -v29
	s_mov_b32 s2, 0x3fb8aa3b
	s_mov_b32 s3, 0x32a5705f
	v_mul_f32_e32 v30, 0x3fb8aa3b, v23
	v_rndne_f32_e32 v31, v30
	v_fma_mix_f32 v32, -v29, s2, -v30 op_sel_hi:[1,0,0]
	v_sub_f32_e32 v30, v30, v31
	v_fma_mix_f32 v29, -v29, s3, v32 op_sel_hi:[1,0,0]
	v_add_f32_e32 v29, v30, v29
	v_cvt_i32_f32_e32 v30, v31
	v_exp_f32_e32 v29, v29
	s_mov_b32 s2, 0xc2ce8ed0
	v_cmp_ngt_f32_e32 vcc, s2, v23
	s_mov_b32 s2, 0x42b17218
	v_ldexp_f32 v29, v29, v30
	v_cndmask_b32_e32 v29, 0, v29, vcc
	v_mov_b32_e32 v30, 0x7f800000
	v_cmp_nlt_f32_e32 vcc, s2, v23
	v_cndmask_b32_e32 v23, v30, v29, vcc
	v_add_f32_e32 v23, 1.0, v23
	v_div_scale_f32 v29, s[2:3], v23, v23, 1.0
	v_rcp_f32_e32 v30, v29
	v_fma_f32 v31, -v29, v30, 1.0
	v_fmac_f32_e32 v30, v31, v30
	v_div_scale_f32 v31, vcc, 1.0, v23, 1.0
	v_mul_f32_e32 v32, v31, v30
	v_fma_f32 v33, -v29, v32, v31
	v_fmac_f32_e32 v32, v33, v30
	v_fma_f32 v29, -v29, v32, v31
	v_div_fmas_f32 v29, v29, v30, v32
	v_div_fixup_f32 v23, v29, v23, 1.0
.LBB8_17:
	s_or_b64 exec, exec, s[0:1]
	v_cmp_o_f16_e32 vcc, v16, v16
	s_and_saveexec_b64 s[0:1], vcc
	s_cbranch_execz .LBB8_19
; %bb.18:
	v_cvt_f32_f16_e64 v28, -v16
	s_mov_b32 s2, 0x3fb8aa3b
	s_mov_b32 s3, 0x32a5705f
	v_mul_f32_e32 v29, 0x3fb8aa3b, v28
	v_rndne_f32_e32 v30, v29
	v_fma_mix_f32 v31, -v16, s2, -v29 op_sel_hi:[1,0,0]
	v_sub_f32_e32 v29, v29, v30
	v_fma_mix_f32 v31, -v16, s3, v31 op_sel_hi:[1,0,0]
	v_add_f32_e32 v29, v29, v31
	v_cvt_i32_f32_e32 v30, v30
	v_exp_f32_e32 v29, v29
	s_mov_b32 s2, 0xc2ce8ed0
	v_cmp_ngt_f32_e32 vcc, s2, v28
	s_mov_b32 s2, 0x42b17218
	v_ldexp_f32 v29, v29, v30
	v_cndmask_b32_e32 v29, 0, v29, vcc
	v_mov_b32_e32 v30, 0x7f800000
	v_cmp_nlt_f32_e32 vcc, s2, v28
	v_cndmask_b32_e32 v28, v30, v29, vcc
	v_add_f32_e32 v28, 1.0, v28
	v_div_scale_f32 v29, s[2:3], v28, v28, 1.0
	v_rcp_f32_e32 v30, v29
	v_fma_f32 v31, -v29, v30, 1.0
	v_fmac_f32_e32 v30, v31, v30
	v_div_scale_f32 v31, vcc, 1.0, v28, 1.0
	v_mul_f32_e32 v32, v31, v30
	v_fma_f32 v33, -v29, v32, v31
	v_fmac_f32_e32 v32, v33, v30
	v_fma_f32 v29, -v29, v32, v31
	v_div_fmas_f32 v29, v29, v30, v32
	v_div_fixup_f32 v28, v29, v28, 1.0
.LBB8_19:
	s_or_b64 exec, exec, s[0:1]
	v_lshrrev_b32_e32 v30, 16, v16
	v_cmp_o_f16_e32 vcc, v30, v30
	v_mov_b32_e32 v16, 0
	v_mov_b32_e32 v29, 0
	s_and_saveexec_b64 s[0:1], vcc
	s_cbranch_execz .LBB8_21
; %bb.20:
	v_cvt_f32_f16_e64 v29, -v30
	s_mov_b32 s2, 0x3fb8aa3b
	s_mov_b32 s3, 0x32a5705f
	v_mul_f32_e32 v31, 0x3fb8aa3b, v29
	v_rndne_f32_e32 v32, v31
	v_fma_mix_f32 v33, -v30, s2, -v31 op_sel_hi:[1,0,0]
	v_sub_f32_e32 v31, v31, v32
	v_fma_mix_f32 v30, -v30, s3, v33 op_sel_hi:[1,0,0]
	v_add_f32_e32 v30, v31, v30
	v_cvt_i32_f32_e32 v31, v32
	v_exp_f32_e32 v30, v30
	s_mov_b32 s2, 0xc2ce8ed0
	v_cmp_ngt_f32_e32 vcc, s2, v29
	s_mov_b32 s2, 0x42b17218
	v_ldexp_f32 v30, v30, v31
	v_cndmask_b32_e32 v30, 0, v30, vcc
	v_mov_b32_e32 v31, 0x7f800000
	v_cmp_nlt_f32_e32 vcc, s2, v29
	v_cndmask_b32_e32 v29, v31, v30, vcc
	v_add_f32_e32 v29, 1.0, v29
	v_div_scale_f32 v30, s[2:3], v29, v29, 1.0
	v_rcp_f32_e32 v31, v30
	v_fma_f32 v32, -v30, v31, 1.0
	v_fmac_f32_e32 v31, v32, v31
	v_div_scale_f32 v32, vcc, 1.0, v29, 1.0
	v_mul_f32_e32 v33, v32, v31
	v_fma_f32 v34, -v30, v33, v32
	v_fmac_f32_e32 v33, v34, v31
	v_fma_f32 v30, -v30, v33, v32
	v_div_fmas_f32 v30, v30, v31, v33
	v_div_fixup_f32 v29, v30, v29, 1.0
.LBB8_21:
	s_or_b64 exec, exec, s[0:1]
	v_cmp_o_f16_e32 vcc, v17, v17
	s_and_saveexec_b64 s[0:1], vcc
	s_cbranch_execz .LBB8_23
; %bb.22:
	v_cvt_f32_f16_e64 v16, -v17
	s_mov_b32 s2, 0x3fb8aa3b
	s_mov_b32 s3, 0x32a5705f
	v_mul_f32_e32 v30, 0x3fb8aa3b, v16
	v_rndne_f32_e32 v31, v30
	v_fma_mix_f32 v32, -v17, s2, -v30 op_sel_hi:[1,0,0]
	v_sub_f32_e32 v30, v30, v31
	v_fma_mix_f32 v32, -v17, s3, v32 op_sel_hi:[1,0,0]
	v_add_f32_e32 v30, v30, v32
	v_cvt_i32_f32_e32 v31, v31
	v_exp_f32_e32 v30, v30
	s_mov_b32 s2, 0xc2ce8ed0
	v_cmp_ngt_f32_e32 vcc, s2, v16
	s_mov_b32 s2, 0x42b17218
	v_ldexp_f32 v30, v30, v31
	v_cndmask_b32_e32 v30, 0, v30, vcc
	v_mov_b32_e32 v31, 0x7f800000
	v_cmp_nlt_f32_e32 vcc, s2, v16
	v_cndmask_b32_e32 v16, v31, v30, vcc
	v_add_f32_e32 v16, 1.0, v16
	v_div_scale_f32 v30, s[2:3], v16, v16, 1.0
	v_rcp_f32_e32 v31, v30
	v_fma_f32 v32, -v30, v31, 1.0
	v_fmac_f32_e32 v31, v32, v31
	v_div_scale_f32 v32, vcc, 1.0, v16, 1.0
	v_mul_f32_e32 v33, v32, v31
	v_fma_f32 v34, -v30, v33, v32
	v_fmac_f32_e32 v33, v34, v31
	v_fma_f32 v30, -v30, v33, v32
	v_div_fmas_f32 v30, v30, v31, v33
	v_div_fixup_f32 v16, v30, v16, 1.0
.LBB8_23:
	s_or_b64 exec, exec, s[0:1]
	v_lshrrev_b32_e32 v31, 16, v17
	v_cmp_o_f16_e32 vcc, v31, v31
	v_mov_b32_e32 v30, 0
	v_mov_b32_e32 v17, 0
	s_and_saveexec_b64 s[0:1], vcc
	s_cbranch_execz .LBB8_25
; %bb.24:
	v_cvt_f32_f16_e64 v17, -v31
	s_mov_b32 s2, 0x3fb8aa3b
	s_mov_b32 s3, 0x32a5705f
	v_mul_f32_e32 v32, 0x3fb8aa3b, v17
	v_rndne_f32_e32 v33, v32
	v_fma_mix_f32 v34, -v31, s2, -v32 op_sel_hi:[1,0,0]
	v_sub_f32_e32 v32, v32, v33
	v_fma_mix_f32 v31, -v31, s3, v34 op_sel_hi:[1,0,0]
	v_add_f32_e32 v31, v32, v31
	v_cvt_i32_f32_e32 v32, v33
	v_exp_f32_e32 v31, v31
	s_mov_b32 s2, 0xc2ce8ed0
	v_cmp_ngt_f32_e32 vcc, s2, v17
	s_mov_b32 s2, 0x42b17218
	v_ldexp_f32 v31, v31, v32
	v_cndmask_b32_e32 v31, 0, v31, vcc
	v_mov_b32_e32 v32, 0x7f800000
	v_cmp_nlt_f32_e32 vcc, s2, v17
	v_cndmask_b32_e32 v17, v32, v31, vcc
	v_add_f32_e32 v17, 1.0, v17
	v_div_scale_f32 v31, s[2:3], v17, v17, 1.0
	v_rcp_f32_e32 v32, v31
	v_fma_f32 v33, -v31, v32, 1.0
	v_fmac_f32_e32 v32, v33, v32
	v_div_scale_f32 v33, vcc, 1.0, v17, 1.0
	v_mul_f32_e32 v34, v33, v32
	v_fma_f32 v35, -v31, v34, v33
	v_fmac_f32_e32 v34, v35, v32
	v_fma_f32 v31, -v31, v34, v33
	v_div_fmas_f32 v31, v31, v32, v34
	v_div_fixup_f32 v17, v31, v17, 1.0
.LBB8_25:
	s_or_b64 exec, exec, s[0:1]
	v_cmp_o_f16_e32 vcc, v18, v18
	s_and_saveexec_b64 s[0:1], vcc
	s_cbranch_execz .LBB8_27
; %bb.26:
	v_cvt_f32_f16_e64 v30, -v18
	s_mov_b32 s2, 0x3fb8aa3b
	s_mov_b32 s3, 0x32a5705f
	v_mul_f32_e32 v31, 0x3fb8aa3b, v30
	v_rndne_f32_e32 v32, v31
	v_fma_mix_f32 v33, -v18, s2, -v31 op_sel_hi:[1,0,0]
	v_sub_f32_e32 v31, v31, v32
	v_fma_mix_f32 v33, -v18, s3, v33 op_sel_hi:[1,0,0]
	v_add_f32_e32 v31, v31, v33
	v_cvt_i32_f32_e32 v32, v32
	v_exp_f32_e32 v31, v31
	s_mov_b32 s2, 0xc2ce8ed0
	v_cmp_ngt_f32_e32 vcc, s2, v30
	s_mov_b32 s2, 0x42b17218
	v_ldexp_f32 v31, v31, v32
	v_cndmask_b32_e32 v31, 0, v31, vcc
	v_mov_b32_e32 v32, 0x7f800000
	v_cmp_nlt_f32_e32 vcc, s2, v30
	v_cndmask_b32_e32 v30, v32, v31, vcc
	v_add_f32_e32 v30, 1.0, v30
	v_div_scale_f32 v31, s[2:3], v30, v30, 1.0
	v_rcp_f32_e32 v32, v31
	v_fma_f32 v33, -v31, v32, 1.0
	v_fmac_f32_e32 v32, v33, v32
	v_div_scale_f32 v33, vcc, 1.0, v30, 1.0
	v_mul_f32_e32 v34, v33, v32
	v_fma_f32 v35, -v31, v34, v33
	v_fmac_f32_e32 v34, v35, v32
	v_fma_f32 v31, -v31, v34, v33
	v_div_fmas_f32 v31, v31, v32, v34
	v_div_fixup_f32 v30, v31, v30, 1.0
.LBB8_27:
	s_or_b64 exec, exec, s[0:1]
	v_lshrrev_b32_e32 v32, 16, v18
	v_cmp_o_f16_e32 vcc, v32, v32
	v_mov_b32_e32 v18, 0
	v_mov_b32_e32 v31, 0
	s_and_saveexec_b64 s[0:1], vcc
	s_cbranch_execz .LBB8_29
; %bb.28:
	v_cvt_f32_f16_e64 v31, -v32
	s_mov_b32 s2, 0x3fb8aa3b
	s_mov_b32 s3, 0x32a5705f
	v_mul_f32_e32 v33, 0x3fb8aa3b, v31
	v_rndne_f32_e32 v34, v33
	v_fma_mix_f32 v35, -v32, s2, -v33 op_sel_hi:[1,0,0]
	v_sub_f32_e32 v33, v33, v34
	v_fma_mix_f32 v32, -v32, s3, v35 op_sel_hi:[1,0,0]
	v_add_f32_e32 v32, v33, v32
	v_cvt_i32_f32_e32 v33, v34
	v_exp_f32_e32 v32, v32
	s_mov_b32 s2, 0xc2ce8ed0
	v_cmp_ngt_f32_e32 vcc, s2, v31
	s_mov_b32 s2, 0x42b17218
	v_ldexp_f32 v32, v32, v33
	v_cndmask_b32_e32 v32, 0, v32, vcc
	v_mov_b32_e32 v33, 0x7f800000
	v_cmp_nlt_f32_e32 vcc, s2, v31
	v_cndmask_b32_e32 v31, v33, v32, vcc
	v_add_f32_e32 v31, 1.0, v31
	v_div_scale_f32 v32, s[2:3], v31, v31, 1.0
	v_rcp_f32_e32 v33, v32
	v_fma_f32 v34, -v32, v33, 1.0
	v_fmac_f32_e32 v33, v34, v33
	v_div_scale_f32 v34, vcc, 1.0, v31, 1.0
	v_mul_f32_e32 v35, v34, v33
	v_fma_f32 v36, -v32, v35, v34
	v_fmac_f32_e32 v35, v36, v33
	v_fma_f32 v32, -v32, v35, v34
	v_div_fmas_f32 v32, v32, v33, v35
	v_div_fixup_f32 v31, v32, v31, 1.0
.LBB8_29:
	s_or_b64 exec, exec, s[0:1]
	v_cmp_o_f16_e32 vcc, v19, v19
	s_and_saveexec_b64 s[0:1], vcc
	s_cbranch_execz .LBB8_31
; %bb.30:
	v_cvt_f32_f16_e64 v18, -v19
	s_mov_b32 s2, 0x3fb8aa3b
	s_mov_b32 s3, 0x32a5705f
	v_mul_f32_e32 v32, 0x3fb8aa3b, v18
	v_rndne_f32_e32 v33, v32
	v_fma_mix_f32 v34, -v19, s2, -v32 op_sel_hi:[1,0,0]
	v_sub_f32_e32 v32, v32, v33
	v_fma_mix_f32 v34, -v19, s3, v34 op_sel_hi:[1,0,0]
	v_add_f32_e32 v32, v32, v34
	v_cvt_i32_f32_e32 v33, v33
	v_exp_f32_e32 v32, v32
	s_mov_b32 s2, 0xc2ce8ed0
	v_cmp_ngt_f32_e32 vcc, s2, v18
	s_mov_b32 s2, 0x42b17218
	v_ldexp_f32 v32, v32, v33
	v_cndmask_b32_e32 v32, 0, v32, vcc
	v_mov_b32_e32 v33, 0x7f800000
	v_cmp_nlt_f32_e32 vcc, s2, v18
	v_cndmask_b32_e32 v18, v33, v32, vcc
	v_add_f32_e32 v18, 1.0, v18
	v_div_scale_f32 v32, s[2:3], v18, v18, 1.0
	v_rcp_f32_e32 v33, v32
	v_fma_f32 v34, -v32, v33, 1.0
	v_fmac_f32_e32 v33, v34, v33
	v_div_scale_f32 v34, vcc, 1.0, v18, 1.0
	v_mul_f32_e32 v35, v34, v33
	v_fma_f32 v36, -v32, v35, v34
	v_fmac_f32_e32 v35, v36, v33
	v_fma_f32 v32, -v32, v35, v34
	v_div_fmas_f32 v32, v32, v33, v35
	v_div_fixup_f32 v18, v32, v18, 1.0
.LBB8_31:
	s_or_b64 exec, exec, s[0:1]
	v_lshrrev_b32_e32 v33, 16, v19
	v_cmp_o_f16_e32 vcc, v33, v33
	v_mov_b32_e32 v32, 0
	v_mov_b32_e32 v19, 0
	s_and_saveexec_b64 s[0:1], vcc
	s_cbranch_execz .LBB8_33
; %bb.32:
	v_cvt_f32_f16_e64 v19, -v33
	s_mov_b32 s2, 0x3fb8aa3b
	s_mov_b32 s3, 0x32a5705f
	v_mul_f32_e32 v34, 0x3fb8aa3b, v19
	v_rndne_f32_e32 v35, v34
	v_fma_mix_f32 v36, -v33, s2, -v34 op_sel_hi:[1,0,0]
	v_sub_f32_e32 v34, v34, v35
	v_fma_mix_f32 v33, -v33, s3, v36 op_sel_hi:[1,0,0]
	v_add_f32_e32 v33, v34, v33
	v_cvt_i32_f32_e32 v34, v35
	v_exp_f32_e32 v33, v33
	s_mov_b32 s2, 0xc2ce8ed0
	v_cmp_ngt_f32_e32 vcc, s2, v19
	s_mov_b32 s2, 0x42b17218
	v_ldexp_f32 v33, v33, v34
	v_cndmask_b32_e32 v33, 0, v33, vcc
	v_mov_b32_e32 v34, 0x7f800000
	v_cmp_nlt_f32_e32 vcc, s2, v19
	v_cndmask_b32_e32 v19, v34, v33, vcc
	v_add_f32_e32 v19, 1.0, v19
	v_div_scale_f32 v33, s[2:3], v19, v19, 1.0
	v_rcp_f32_e32 v34, v33
	v_fma_f32 v35, -v33, v34, 1.0
	v_fmac_f32_e32 v34, v35, v34
	v_div_scale_f32 v35, vcc, 1.0, v19, 1.0
	v_mul_f32_e32 v36, v35, v34
	v_fma_f32 v37, -v33, v36, v35
	v_fmac_f32_e32 v36, v37, v34
	v_fma_f32 v33, -v33, v36, v35
	v_div_fmas_f32 v33, v33, v34, v36
	v_div_fixup_f32 v19, v33, v19, 1.0
.LBB8_33:
	s_or_b64 exec, exec, s[0:1]
	v_cmp_o_f16_e32 vcc, v12, v12
	s_and_saveexec_b64 s[0:1], vcc
	s_cbranch_execz .LBB8_35
; %bb.34:
	v_cvt_f32_f16_e64 v32, -v12
	s_mov_b32 s2, 0x3fb8aa3b
	s_mov_b32 s3, 0x32a5705f
	v_mul_f32_e32 v33, 0x3fb8aa3b, v32
	v_rndne_f32_e32 v34, v33
	v_fma_mix_f32 v35, -v12, s2, -v33 op_sel_hi:[1,0,0]
	v_sub_f32_e32 v33, v33, v34
	v_fma_mix_f32 v35, -v12, s3, v35 op_sel_hi:[1,0,0]
	v_add_f32_e32 v33, v33, v35
	v_cvt_i32_f32_e32 v34, v34
	v_exp_f32_e32 v33, v33
	s_mov_b32 s2, 0xc2ce8ed0
	v_cmp_ngt_f32_e32 vcc, s2, v32
	s_mov_b32 s2, 0x42b17218
	v_ldexp_f32 v33, v33, v34
	v_cndmask_b32_e32 v33, 0, v33, vcc
	v_mov_b32_e32 v34, 0x7f800000
	v_cmp_nlt_f32_e32 vcc, s2, v32
	v_cndmask_b32_e32 v32, v34, v33, vcc
	v_add_f32_e32 v32, 1.0, v32
	v_div_scale_f32 v33, s[2:3], v32, v32, 1.0
	v_rcp_f32_e32 v34, v33
	v_fma_f32 v35, -v33, v34, 1.0
	v_fmac_f32_e32 v34, v35, v34
	v_div_scale_f32 v35, vcc, 1.0, v32, 1.0
	v_mul_f32_e32 v36, v35, v34
	v_fma_f32 v37, -v33, v36, v35
	v_fmac_f32_e32 v36, v37, v34
	v_fma_f32 v33, -v33, v36, v35
	v_div_fmas_f32 v33, v33, v34, v36
	v_div_fixup_f32 v32, v33, v32, 1.0
.LBB8_35:
	s_or_b64 exec, exec, s[0:1]
	v_lshrrev_b32_e32 v34, 16, v12
	v_cmp_o_f16_e32 vcc, v34, v34
	v_mov_b32_e32 v12, 0
	v_mov_b32_e32 v33, 0
	s_and_saveexec_b64 s[0:1], vcc
	s_cbranch_execz .LBB8_37
; %bb.36:
	v_cvt_f32_f16_e64 v33, -v34
	s_mov_b32 s2, 0x3fb8aa3b
	s_mov_b32 s3, 0x32a5705f
	v_mul_f32_e32 v35, 0x3fb8aa3b, v33
	v_rndne_f32_e32 v36, v35
	v_fma_mix_f32 v37, -v34, s2, -v35 op_sel_hi:[1,0,0]
	v_sub_f32_e32 v35, v35, v36
	v_fma_mix_f32 v34, -v34, s3, v37 op_sel_hi:[1,0,0]
	v_add_f32_e32 v34, v35, v34
	v_cvt_i32_f32_e32 v35, v36
	v_exp_f32_e32 v34, v34
	s_mov_b32 s2, 0xc2ce8ed0
	v_cmp_ngt_f32_e32 vcc, s2, v33
	s_mov_b32 s2, 0x42b17218
	v_ldexp_f32 v34, v34, v35
	v_cndmask_b32_e32 v34, 0, v34, vcc
	v_mov_b32_e32 v35, 0x7f800000
	v_cmp_nlt_f32_e32 vcc, s2, v33
	v_cndmask_b32_e32 v33, v35, v34, vcc
	v_add_f32_e32 v33, 1.0, v33
	v_div_scale_f32 v34, s[2:3], v33, v33, 1.0
	v_rcp_f32_e32 v35, v34
	v_fma_f32 v36, -v34, v35, 1.0
	v_fmac_f32_e32 v35, v36, v35
	v_div_scale_f32 v36, vcc, 1.0, v33, 1.0
	v_mul_f32_e32 v37, v36, v35
	v_fma_f32 v38, -v34, v37, v36
	v_fmac_f32_e32 v37, v38, v35
	v_fma_f32 v34, -v34, v37, v36
	v_div_fmas_f32 v34, v34, v35, v37
	v_div_fixup_f32 v33, v34, v33, 1.0
.LBB8_37:
	s_or_b64 exec, exec, s[0:1]
	v_cmp_o_f16_e32 vcc, v13, v13
	s_and_saveexec_b64 s[0:1], vcc
	s_cbranch_execz .LBB8_39
; %bb.38:
	v_cvt_f32_f16_e64 v12, -v13
	s_mov_b32 s2, 0x3fb8aa3b
	s_mov_b32 s3, 0x32a5705f
	v_mul_f32_e32 v34, 0x3fb8aa3b, v12
	v_rndne_f32_e32 v35, v34
	v_fma_mix_f32 v36, -v13, s2, -v34 op_sel_hi:[1,0,0]
	v_sub_f32_e32 v34, v34, v35
	v_fma_mix_f32 v36, -v13, s3, v36 op_sel_hi:[1,0,0]
	v_add_f32_e32 v34, v34, v36
	v_cvt_i32_f32_e32 v35, v35
	v_exp_f32_e32 v34, v34
	s_mov_b32 s2, 0xc2ce8ed0
	v_cmp_ngt_f32_e32 vcc, s2, v12
	s_mov_b32 s2, 0x42b17218
	v_ldexp_f32 v34, v34, v35
	v_cndmask_b32_e32 v34, 0, v34, vcc
	v_mov_b32_e32 v35, 0x7f800000
	v_cmp_nlt_f32_e32 vcc, s2, v12
	v_cndmask_b32_e32 v12, v35, v34, vcc
	v_add_f32_e32 v12, 1.0, v12
	v_div_scale_f32 v34, s[2:3], v12, v12, 1.0
	v_rcp_f32_e32 v35, v34
	v_fma_f32 v36, -v34, v35, 1.0
	v_fmac_f32_e32 v35, v36, v35
	v_div_scale_f32 v36, vcc, 1.0, v12, 1.0
	v_mul_f32_e32 v37, v36, v35
	v_fma_f32 v38, -v34, v37, v36
	v_fmac_f32_e32 v37, v38, v35
	v_fma_f32 v34, -v34, v37, v36
	v_div_fmas_f32 v34, v34, v35, v37
	v_div_fixup_f32 v12, v34, v12, 1.0
.LBB8_39:
	s_or_b64 exec, exec, s[0:1]
	v_lshrrev_b32_e32 v35, 16, v13
	v_cmp_o_f16_e32 vcc, v35, v35
	v_mov_b32_e32 v34, 0
	v_mov_b32_e32 v13, 0
	s_and_saveexec_b64 s[0:1], vcc
	s_cbranch_execz .LBB8_41
; %bb.40:
	v_cvt_f32_f16_e64 v13, -v35
	s_mov_b32 s2, 0x3fb8aa3b
	s_mov_b32 s3, 0x32a5705f
	v_mul_f32_e32 v36, 0x3fb8aa3b, v13
	v_rndne_f32_e32 v37, v36
	v_fma_mix_f32 v38, -v35, s2, -v36 op_sel_hi:[1,0,0]
	v_sub_f32_e32 v36, v36, v37
	v_fma_mix_f32 v35, -v35, s3, v38 op_sel_hi:[1,0,0]
	v_add_f32_e32 v35, v36, v35
	v_cvt_i32_f32_e32 v36, v37
	v_exp_f32_e32 v35, v35
	s_mov_b32 s2, 0xc2ce8ed0
	v_cmp_ngt_f32_e32 vcc, s2, v13
	s_mov_b32 s2, 0x42b17218
	v_ldexp_f32 v35, v35, v36
	v_cndmask_b32_e32 v35, 0, v35, vcc
	v_mov_b32_e32 v36, 0x7f800000
	v_cmp_nlt_f32_e32 vcc, s2, v13
	v_cndmask_b32_e32 v13, v36, v35, vcc
	v_add_f32_e32 v13, 1.0, v13
	v_div_scale_f32 v35, s[2:3], v13, v13, 1.0
	v_rcp_f32_e32 v36, v35
	v_fma_f32 v37, -v35, v36, 1.0
	v_fmac_f32_e32 v36, v37, v36
	v_div_scale_f32 v37, vcc, 1.0, v13, 1.0
	v_mul_f32_e32 v38, v37, v36
	v_fma_f32 v39, -v35, v38, v37
	v_fmac_f32_e32 v38, v39, v36
	v_fma_f32 v35, -v35, v38, v37
	v_div_fmas_f32 v35, v35, v36, v38
	v_div_fixup_f32 v13, v35, v13, 1.0
.LBB8_41:
	s_or_b64 exec, exec, s[0:1]
	v_cmp_o_f16_e32 vcc, v14, v14
	s_and_saveexec_b64 s[0:1], vcc
	s_cbranch_execz .LBB8_43
; %bb.42:
	v_cvt_f32_f16_e64 v34, -v14
	s_mov_b32 s2, 0x3fb8aa3b
	s_mov_b32 s3, 0x32a5705f
	v_mul_f32_e32 v35, 0x3fb8aa3b, v34
	v_rndne_f32_e32 v36, v35
	v_fma_mix_f32 v37, -v14, s2, -v35 op_sel_hi:[1,0,0]
	v_sub_f32_e32 v35, v35, v36
	v_fma_mix_f32 v37, -v14, s3, v37 op_sel_hi:[1,0,0]
	v_add_f32_e32 v35, v35, v37
	v_cvt_i32_f32_e32 v36, v36
	v_exp_f32_e32 v35, v35
	s_mov_b32 s2, 0xc2ce8ed0
	v_cmp_ngt_f32_e32 vcc, s2, v34
	s_mov_b32 s2, 0x42b17218
	v_ldexp_f32 v35, v35, v36
	v_cndmask_b32_e32 v35, 0, v35, vcc
	v_mov_b32_e32 v36, 0x7f800000
	v_cmp_nlt_f32_e32 vcc, s2, v34
	v_cndmask_b32_e32 v34, v36, v35, vcc
	v_add_f32_e32 v34, 1.0, v34
	v_div_scale_f32 v35, s[2:3], v34, v34, 1.0
	v_rcp_f32_e32 v36, v35
	v_fma_f32 v37, -v35, v36, 1.0
	v_fmac_f32_e32 v36, v37, v36
	v_div_scale_f32 v37, vcc, 1.0, v34, 1.0
	v_mul_f32_e32 v38, v37, v36
	v_fma_f32 v39, -v35, v38, v37
	v_fmac_f32_e32 v38, v39, v36
	v_fma_f32 v35, -v35, v38, v37
	v_div_fmas_f32 v35, v35, v36, v38
	v_div_fixup_f32 v34, v35, v34, 1.0
.LBB8_43:
	s_or_b64 exec, exec, s[0:1]
	v_lshrrev_b32_e32 v36, 16, v14
	v_cmp_o_f16_e32 vcc, v36, v36
	v_mov_b32_e32 v14, 0
	v_mov_b32_e32 v35, 0
	s_and_saveexec_b64 s[0:1], vcc
	s_cbranch_execz .LBB8_45
; %bb.44:
	v_cvt_f32_f16_e64 v35, -v36
	s_mov_b32 s2, 0x3fb8aa3b
	s_mov_b32 s3, 0x32a5705f
	v_mul_f32_e32 v37, 0x3fb8aa3b, v35
	v_rndne_f32_e32 v38, v37
	v_fma_mix_f32 v39, -v36, s2, -v37 op_sel_hi:[1,0,0]
	v_sub_f32_e32 v37, v37, v38
	v_fma_mix_f32 v36, -v36, s3, v39 op_sel_hi:[1,0,0]
	v_add_f32_e32 v36, v37, v36
	v_cvt_i32_f32_e32 v37, v38
	v_exp_f32_e32 v36, v36
	s_mov_b32 s2, 0xc2ce8ed0
	v_cmp_ngt_f32_e32 vcc, s2, v35
	s_mov_b32 s2, 0x42b17218
	v_ldexp_f32 v36, v36, v37
	v_cndmask_b32_e32 v36, 0, v36, vcc
	v_mov_b32_e32 v37, 0x7f800000
	v_cmp_nlt_f32_e32 vcc, s2, v35
	v_cndmask_b32_e32 v35, v37, v36, vcc
	v_add_f32_e32 v35, 1.0, v35
	v_div_scale_f32 v36, s[2:3], v35, v35, 1.0
	v_rcp_f32_e32 v37, v36
	v_fma_f32 v38, -v36, v37, 1.0
	v_fmac_f32_e32 v37, v38, v37
	v_div_scale_f32 v38, vcc, 1.0, v35, 1.0
	v_mul_f32_e32 v39, v38, v37
	v_fma_f32 v40, -v36, v39, v38
	v_fmac_f32_e32 v39, v40, v37
	v_fma_f32 v36, -v36, v39, v38
	v_div_fmas_f32 v36, v36, v37, v39
	v_div_fixup_f32 v35, v36, v35, 1.0
.LBB8_45:
	s_or_b64 exec, exec, s[0:1]
	v_cmp_o_f16_e32 vcc, v15, v15
	s_and_saveexec_b64 s[0:1], vcc
	s_cbranch_execz .LBB8_47
; %bb.46:
	v_cvt_f32_f16_e64 v14, -v15
	s_mov_b32 s2, 0x3fb8aa3b
	s_mov_b32 s3, 0x32a5705f
	v_mul_f32_e32 v36, 0x3fb8aa3b, v14
	v_rndne_f32_e32 v37, v36
	v_fma_mix_f32 v38, -v15, s2, -v36 op_sel_hi:[1,0,0]
	v_sub_f32_e32 v36, v36, v37
	v_fma_mix_f32 v38, -v15, s3, v38 op_sel_hi:[1,0,0]
	v_add_f32_e32 v36, v36, v38
	v_cvt_i32_f32_e32 v37, v37
	v_exp_f32_e32 v36, v36
	s_mov_b32 s2, 0xc2ce8ed0
	v_cmp_ngt_f32_e32 vcc, s2, v14
	s_mov_b32 s2, 0x42b17218
	v_ldexp_f32 v36, v36, v37
	v_cndmask_b32_e32 v36, 0, v36, vcc
	v_mov_b32_e32 v37, 0x7f800000
	v_cmp_nlt_f32_e32 vcc, s2, v14
	v_cndmask_b32_e32 v14, v37, v36, vcc
	v_add_f32_e32 v14, 1.0, v14
	v_div_scale_f32 v36, s[2:3], v14, v14, 1.0
	v_rcp_f32_e32 v37, v36
	v_fma_f32 v38, -v36, v37, 1.0
	v_fmac_f32_e32 v37, v38, v37
	v_div_scale_f32 v38, vcc, 1.0, v14, 1.0
	v_mul_f32_e32 v39, v38, v37
	v_fma_f32 v40, -v36, v39, v38
	v_fmac_f32_e32 v39, v40, v37
	v_fma_f32 v36, -v36, v39, v38
	v_div_fmas_f32 v36, v36, v37, v39
	v_div_fixup_f32 v14, v36, v14, 1.0
.LBB8_47:
	s_or_b64 exec, exec, s[0:1]
	v_lshrrev_b32_e32 v36, 16, v15
	v_cmp_o_f16_e32 vcc, v36, v36
	v_mov_b32_e32 v15, 0
	s_and_saveexec_b64 s[0:1], vcc
	s_cbranch_execz .LBB8_49
; %bb.48:
	v_cvt_f32_f16_e64 v15, -v36
	s_mov_b32 s2, 0x3fb8aa3b
	s_mov_b32 s3, 0x32a5705f
	v_mul_f32_e32 v37, 0x3fb8aa3b, v15
	v_rndne_f32_e32 v38, v37
	v_fma_mix_f32 v39, -v36, s2, -v37 op_sel_hi:[1,0,0]
	v_sub_f32_e32 v37, v37, v38
	v_fma_mix_f32 v36, -v36, s3, v39 op_sel_hi:[1,0,0]
	v_add_f32_e32 v36, v37, v36
	v_cvt_i32_f32_e32 v37, v38
	v_exp_f32_e32 v36, v36
	s_mov_b32 s2, 0xc2ce8ed0
	v_cmp_ngt_f32_e32 vcc, s2, v15
	s_mov_b32 s2, 0x42b17218
	v_ldexp_f32 v36, v36, v37
	v_cndmask_b32_e32 v36, 0, v36, vcc
	v_mov_b32_e32 v37, 0x7f800000
	v_cmp_nlt_f32_e32 vcc, s2, v15
	v_cndmask_b32_e32 v15, v37, v36, vcc
	v_add_f32_e32 v15, 1.0, v15
	v_div_scale_f32 v36, s[2:3], v15, v15, 1.0
	v_rcp_f32_e32 v37, v36
	v_fma_f32 v38, -v36, v37, 1.0
	v_fmac_f32_e32 v37, v38, v37
	v_div_scale_f32 v38, vcc, 1.0, v15, 1.0
	v_mul_f32_e32 v39, v38, v37
	v_fma_f32 v40, -v36, v39, v38
	v_fmac_f32_e32 v39, v40, v37
	v_fma_f32 v36, -v36, v39, v38
	v_div_fmas_f32 v36, v36, v37, v39
	v_div_fixup_f32 v15, v36, v15, 1.0
.LBB8_49:
	s_or_b64 exec, exec, s[0:1]
	s_waitcnt vmcnt(0)
	v_cvt_f32_f16_e32 v36, v8
	v_cvt_f32_f16_sdwa v8, v8 dst_sel:DWORD dst_unused:UNUSED_PAD src0_sel:WORD_1
	s_mov_b32 s2, 0xff7fffff
	v_add_f32_e32 v56, v54, v36
	v_add_f32_e32 v57, v55, v8
	v_max_f32_e32 v8, 0xff7fffff, v56
	v_cmp_ngt_f32_e32 vcc, v57, v8
	v_mov_b32_e32 v36, v8
	v_mov_b32_e32 v37, v57
	s_and_saveexec_b64 s[0:1], vcc
	s_cbranch_execz .LBB8_53
; %bb.50:
	v_cmp_lt_f32_e32 vcc, s2, v57
	v_mov_b32_e32 v36, 0xff7fffff
	s_and_saveexec_b64 s[2:3], vcc
; %bb.51:
	v_mov_b32_e32 v36, v57
; %bb.52:
	s_or_b64 exec, exec, s[2:3]
	v_mov_b32_e32 v37, v8
.LBB8_53:
	s_or_b64 exec, exec, s[0:1]
	v_cvt_f32_f16_sdwa v39, v9 dst_sel:DWORD dst_unused:UNUSED_PAD src0_sel:WORD_1
	v_cvt_f32_f16_e32 v38, v9
	v_mov_b32_e32 v40, v37
	v_pk_add_f32 v[8:9], v[20:21], v[38:39]
	v_cmp_ngt_f32_e32 vcc, v8, v37
	v_mov_b32_e32 v41, v8
	s_and_saveexec_b64 s[0:1], vcc
	s_cbranch_execz .LBB8_57
; %bb.54:
	v_cmp_gt_f32_e32 vcc, v8, v36
	s_and_saveexec_b64 s[2:3], vcc
; %bb.55:
	v_mov_b32_e32 v36, v8
; %bb.56:
	s_or_b64 exec, exec, s[2:3]
	v_mov_b32_e32 v40, v36
	v_mov_b32_e32 v41, v37
.LBB8_57:
	s_or_b64 exec, exec, s[0:1]
	v_cmp_ngt_f32_e32 vcc, v9, v41
	v_mov_b32_e32 v39, v41
	v_mov_b32_e32 v38, v9
	s_and_saveexec_b64 s[0:1], vcc
	s_cbranch_execz .LBB8_61
; %bb.58:
	v_cmp_gt_f32_e32 vcc, v9, v40
	s_and_saveexec_b64 s[2:3], vcc
; %bb.59:
	v_mov_b32_e32 v40, v9
; %bb.60:
	s_or_b64 exec, exec, s[2:3]
	v_mov_b32_e32 v39, v40
	v_mov_b32_e32 v38, v41
.LBB8_61:
	s_or_b64 exec, exec, s[0:1]
	v_cvt_f32_f16_sdwa v37, v10 dst_sel:DWORD dst_unused:UNUSED_PAD src0_sel:WORD_1
	v_cvt_f32_f16_e32 v36, v10
	v_mov_b32_e32 v10, v38
	v_pk_add_f32 v[36:37], v[26:27], v[36:37]
	v_cmp_ngt_f32_e32 vcc, v36, v38
	v_mov_b32_e32 v40, v36
	s_and_saveexec_b64 s[0:1], vcc
	s_cbranch_execz .LBB8_65
; %bb.62:
	v_cmp_gt_f32_e32 vcc, v36, v39
	s_and_saveexec_b64 s[2:3], vcc
; %bb.63:
	v_mov_b32_e32 v39, v36
; %bb.64:
	s_or_b64 exec, exec, s[2:3]
	v_mov_b32_e32 v10, v39
	v_mov_b32_e32 v40, v38
.LBB8_65:
	s_or_b64 exec, exec, s[0:1]
	v_cmp_ngt_f32_e32 vcc, v37, v40
	v_mov_b32_e32 v39, v40
	v_mov_b32_e32 v38, v37
	s_and_saveexec_b64 s[0:1], vcc
	s_cbranch_execz .LBB8_69
; %bb.66:
	v_cmp_gt_f32_e32 vcc, v37, v10
	s_and_saveexec_b64 s[2:3], vcc
; %bb.67:
	v_mov_b32_e32 v10, v37
; %bb.68:
	s_or_b64 exec, exec, s[2:3]
	v_mov_b32_e32 v39, v10
	v_mov_b32_e32 v38, v40
.LBB8_69:
	;; [unrolled: 35-line block ×11, first 2 shown]
	s_or_b64 exec, exec, s[0:1]
	v_cmp_lt_i64_e64 s[0:1], s[58:59], 8
	s_and_b64 vcc, exec, s[0:1]
	s_cbranch_vccz .LBB8_144
; %bb.142:
	s_sub_u32 s6, 8, s58
	s_subb_u32 s7, 0, s59
	v_add_f32_e32 v6, v6, v7
	s_mov_b64 s[8:9], 0
	s_mov_b32 s10, 0x2aaaaaab
	v_mov_b32_e32 v7, 0x7f7fffff
.LBB8_143:                              ; =>This Inner Loop Header: Depth=1
	v_mov_b32_dpp v49, v53 quad_perm:[1,0,3,2] row_mask:0xf bank_mask:0xf
	v_mov_b32_dpp v50, v6 quad_perm:[1,0,3,2] row_mask:0xf bank_mask:0xf
	v_cmp_eq_f32_e64 s[0:1], v6, v50
	v_cmp_lt_i32_e64 s[2:3], v53, v49
	v_cmp_lt_f32_e32 vcc, v6, v50
	s_and_b64 s[0:1], s[2:3], s[0:1]
	s_or_b64 vcc, vcc, s[0:1]
	v_cndmask_b32_e32 v50, v50, v6, vcc
	v_cndmask_b32_e32 v49, v49, v53, vcc
	s_nop 0
	v_mov_b32_dpp v58, v50 quad_perm:[2,3,0,1] row_mask:0xf bank_mask:0xf
	v_mov_b32_dpp v51, v49 quad_perm:[2,3,0,1] row_mask:0xf bank_mask:0xf
	v_cmp_eq_f32_e32 vcc, v50, v58
	v_cmp_lt_i32_e64 s[0:1], v49, v51
	s_and_b64 vcc, vcc, s[0:1]
	v_cmp_lt_f32_e64 s[0:1], v50, v58
	v_cndmask_b32_e32 v59, v58, v50, vcc
	s_or_b64 vcc, s[0:1], vcc
	v_cndmask_b32_e64 v50, v59, v50, s[0:1]
	v_cndmask_b32_e32 v49, v51, v49, vcc
	s_add_u32 s8, s8, 1
	v_mov_b32_dpp v58, v50 row_half_mirror row_mask:0xf bank_mask:0xf
	v_mov_b32_dpp v51, v49 row_half_mirror row_mask:0xf bank_mask:0xf
	v_min_i32_e32 v59, v49, v51
	v_cmp_eq_f32_e32 vcc, v50, v58
	v_cndmask_b32_e32 v51, v51, v59, vcc
	v_cmp_lt_f32_e32 vcc, v50, v58
	v_cndmask_b32_e32 v49, v51, v49, vcc
	v_mul_hi_i32 v49, v49, s10
	v_lshrrev_b32_e32 v50, 31, v49
	v_ashrrev_i32_e32 v49, 2, v49
	v_add_u32_e32 v49, v49, v50
	s_addc_u32 s9, s9, 0
	v_cmp_eq_u32_e32 vcc, v52, v49
	v_pk_mov_b32 v[50:51], s[8:9], s[8:9] op_sel:[0,1]
	v_cndmask_b32_e32 v56, v56, v7, vcc
	v_cndmask_b32_e32 v6, v6, v7, vcc
	v_cmp_le_i64_e32 vcc, s[6:7], v[50:51]
	s_cbranch_vccz .LBB8_143
.LBB8_144:
	s_sub_u32 s56, s60, s62
	s_subb_u32 s57, s61, s63
	s_mov_b64 s[0:1], src_shared_base
	s_cmp_lg_u32 0, -1
	s_cselect_b32 s0, s1, 0
	s_cselect_b32 s1, 0, 0
	s_add_u32 s1, s1, 0xff
	s_addc_u32 s0, s0, 0
	s_and_b32 s1, s1, 0xffffff00
	v_mov_b32_e32 v6, s1
	v_mov_b32_e32 v7, s0
	v_lshlrev_b32_e32 v49, 2, v48
	v_mad_u64_u32 v[6:7], s[0:1], v49, s60, v[6:7]
	s_load_dword s33, s[4:5], 0x48
	v_mov_b32_e32 v48, v7
	v_mad_u64_u32 v[48:49], s[0:1], v49, s61, v[48:49]
	v_cmp_lt_i64_e64 s[0:1], s[56:57], 1
	v_mov_b32_e32 v7, v48
	s_and_b64 vcc, exec, s[0:1]
	v_cmp_eq_u32_e64 s[0:1], 0, v52
	s_cbranch_vccnz .LBB8_155
; %bb.145:
	s_waitcnt lgkmcnt(0)
	v_mad_u64_u32 v[48:49], s[2:3], s33, v24, 0
	s_ashr_i32 s6, s33, 31
	v_mov_b32_e32 v50, v49
	v_mad_u64_u32 v[50:51], s[2:3], s6, v24, v[50:51]
	v_mov_b32_e32 v49, v50
	v_lshlrev_b64 v[48:49], 2, v[48:49]
	v_mov_b32_e32 v50, s55
	v_add_co_u32_e32 v48, vcc, s54, v48
	v_addc_co_u32_e32 v49, vcc, v50, v49, vcc
	v_add_u32_e32 v59, 8, v53
	v_add_u32_e32 v60, 9, v53
	;; [unrolled: 1-line block ×16, first 2 shown]
	s_mov_b64 s[58:59], 0
	v_mov_b32_e32 v58, 0
	s_mov_b32 s68, 0x7f7fffff
	s_mov_b32 s69, 0x2aaaaaab
	v_mov_b32_e32 v75, 0xff7fffff
	v_pk_mov_b32 v[50:51], v[6:7], v[6:7] op_sel:[0,1]
	s_branch .LBB8_147
.LBB8_146:                              ;   in Loop: Header=BB8_147 Depth=1
	s_or_b64 exec, exec, s[2:3]
	v_add_co_u32_e32 v48, vcc, 4, v48
	s_add_u32 s58, s58, 1
	v_addc_co_u32_e32 v49, vcc, 0, v49, vcc
	s_addc_u32 s59, s59, 0
	v_add_co_u32_e32 v50, vcc, 4, v50
	v_addc_co_u32_e32 v51, vcc, 0, v51, vcc
	v_pk_mov_b32 v[76:77], s[58:59], s[58:59] op_sel:[0,1]
	v_cmp_le_i64_e32 vcc, s[56:57], v[76:77]
	s_cbranch_vccnz .LBB8_156
.LBB8_147:                              ; =>This Inner Loop Header: Depth=1
	v_cmp_neq_f32_e32 vcc, s68, v56
	v_mov_b32_e32 v76, 0xff7fffff
	v_mov_b32_e32 v77, v53
	s_and_saveexec_b64 s[2:3], vcc
	s_cbranch_execz .LBB8_149
; %bb.148:                              ;   in Loop: Header=BB8_147 Depth=1
	v_cmp_gt_f32_e32 vcc, v57, v56
	v_cndmask_b32_e32 v76, v56, v57, vcc
	v_cndmask_b32_e64 v77, 0, 1, vcc
	v_cmp_gt_f32_e32 vcc, v8, v76
	v_cndmask_b32_e32 v76, v76, v8, vcc
	v_cndmask_b32_e64 v77, v77, 2, vcc
	v_cmp_gt_f32_e32 vcc, v9, v76
	v_cndmask_b32_e32 v76, v76, v9, vcc
	v_cndmask_b32_e64 v77, v77, 3, vcc
	v_cmp_gt_f32_e32 vcc, v36, v76
	v_cndmask_b32_e32 v76, v76, v36, vcc
	v_cndmask_b32_e64 v77, v77, 4, vcc
	v_cmp_gt_f32_e32 vcc, v37, v76
	v_cndmask_b32_e32 v76, v76, v37, vcc
	v_cndmask_b32_e64 v77, v77, 5, vcc
	v_cmp_gt_f32_e32 vcc, v10, v76
	v_cndmask_b32_e32 v76, v76, v10, vcc
	v_cndmask_b32_e64 v77, v77, 6, vcc
	v_cmp_gt_f32_e32 vcc, v11, v76
	v_cndmask_b32_e32 v76, v76, v11, vcc
	v_cndmask_b32_e64 v77, v77, 7, vcc
	v_cmp_gt_f32_e32 vcc, v38, v76
	v_or_b32_e32 v77, v77, v53
	v_cndmask_b32_e32 v76, v76, v38, vcc
	v_cndmask_b32_e32 v77, v77, v59, vcc
	v_cmp_gt_f32_e32 vcc, v39, v76
	v_cndmask_b32_e32 v76, v76, v39, vcc
	v_cndmask_b32_e32 v77, v77, v60, vcc
	v_cmp_gt_f32_e32 vcc, v4, v76
	;; [unrolled: 3-line block ×15, first 2 shown]
	v_cndmask_b32_e32 v76, v76, v3, vcc
	v_cndmask_b32_e32 v77, v77, v74, vcc
.LBB8_149:                              ;   in Loop: Header=BB8_147 Depth=1
	s_or_b64 exec, exec, s[2:3]
	s_nop 0
	v_mov_b32_dpp v78, v77 quad_perm:[1,0,3,2] row_mask:0xf bank_mask:0xf
	v_mov_b32_dpp v79, v76 quad_perm:[1,0,3,2] row_mask:0xf bank_mask:0xf
	v_cmp_eq_f32_e64 s[2:3], v76, v79
	v_cmp_lt_i32_e64 s[6:7], v77, v78
	v_cmp_gt_f32_e32 vcc, v76, v79
	s_and_b64 s[2:3], s[2:3], s[6:7]
	s_or_b64 vcc, vcc, s[2:3]
	v_cndmask_b32_e32 v76, v79, v76, vcc
	v_cndmask_b32_e32 v77, v78, v77, vcc
	s_nop 0
	v_mov_b32_dpp v79, v76 quad_perm:[2,3,0,1] row_mask:0xf bank_mask:0xf
	v_mov_b32_dpp v78, v77 quad_perm:[2,3,0,1] row_mask:0xf bank_mask:0xf
	v_cmp_eq_f32_e32 vcc, v76, v79
	v_cmp_lt_i32_e64 s[2:3], v77, v78
	s_and_b64 vcc, vcc, s[2:3]
	v_cmp_gt_f32_e64 s[2:3], v76, v79
	v_cndmask_b32_e32 v80, v79, v76, vcc
	s_or_b64 vcc, s[2:3], vcc
	v_cndmask_b32_e64 v76, v80, v76, s[2:3]
	v_cndmask_b32_e32 v77, v78, v77, vcc
	s_nop 0
	v_mov_b32_dpp v79, v76 row_half_mirror row_mask:0xf bank_mask:0xf
	v_mov_b32_dpp v78, v77 row_half_mirror row_mask:0xf bank_mask:0xf
	v_min_i32_e32 v80, v77, v78
	v_cmp_eq_f32_e32 vcc, v76, v79
	v_cndmask_b32_e32 v78, v78, v80, vcc
	v_cmp_gt_f32_e32 vcc, v76, v79
	v_cndmask_b32_e32 v76, v78, v77, vcc
	v_mul_hi_i32 v77, v76, s69
	v_lshrrev_b32_e32 v78, 31, v77
	v_ashrrev_i32_e32 v77, 2, v77
	v_add_u32_e32 v77, v77, v78
	v_cmp_eq_u32_e32 vcc, v52, v77
	s_and_saveexec_b64 s[64:65], vcc
	s_cbranch_execz .LBB8_153
; %bb.150:                              ;   in Loop: Header=BB8_147 Depth=1
	v_sub_u32_e32 v77, v76, v53
	v_cmp_eq_u32_e64 s[44:45], 1, v77
	v_cmp_eq_u32_e64 s[46:47], 3, v77
	v_cmp_eq_u32_e64 s[48:49], 2, v77
	v_cmp_eq_u32_e64 s[40:41], 5, v77
	v_cmp_eq_u32_e64 s[42:43], 4, v77
	v_cmp_eq_u32_e64 s[36:37], 7, v77
	v_cmp_eq_u32_e64 s[38:39], 6, v77
	v_cmp_eq_u32_e64 s[30:31], 9, v77
	v_cmp_eq_u32_e64 s[34:35], 8, v77
	v_cmp_eq_u32_e64 s[26:27], 11, v77
	v_cmp_eq_u32_e64 s[28:29], 10, v77
	v_cmp_eq_u32_e64 s[22:23], 13, v77
	v_cmp_eq_u32_e64 s[24:25], 12, v77
	v_cmp_eq_u32_e64 s[18:19], 15, v77
	v_cmp_eq_u32_e64 s[20:21], 14, v77
	v_cmp_eq_u32_e64 s[14:15], 17, v77
	v_cmp_eq_u32_e64 s[16:17], 16, v77
	v_cmp_eq_u32_e64 s[10:11], 19, v77
	v_cmp_eq_u32_e64 s[12:13], 18, v77
	v_cmp_eq_u32_e64 s[6:7], 21, v77
	v_cmp_eq_u32_e64 s[8:9], 20, v77
	v_cmp_eq_u32_e32 vcc, 23, v77
	v_cmp_eq_u32_e64 s[2:3], 22, v77
	v_cmp_gt_u32_e64 s[50:51], 24, v77
	s_and_saveexec_b64 s[66:67], s[50:51]
	s_cbranch_execz .LBB8_152
; %bb.151:                              ;   in Loop: Header=BB8_147 Depth=1
	v_cndmask_b32_e64 v78, v54, v55, s[44:45]
	v_cndmask_b32_e64 v78, v78, v20, s[48:49]
	;; [unrolled: 1-line block ×22, first 2 shown]
	v_cndmask_b32_e32 v78, v78, v15, vcc
	flat_store_dword v[50:51], v78
.LBB8_152:                              ;   in Loop: Header=BB8_147 Depth=1
	s_or_b64 exec, exec, s[66:67]
	v_cmp_ne_u32_e64 s[50:51], 0, v77
	v_cndmask_b32_e64 v56, v75, v56, s[50:51]
	v_cndmask_b32_e64 v57, v57, v75, s[44:45]
	;; [unrolled: 1-line block ×22, first 2 shown]
	v_cndmask_b32_e32 v3, v3, v75, vcc
	v_cndmask_b32_e64 v2, v2, v75, s[2:3]
	global_store_dword v[48:49], v76, off
.LBB8_153:                              ;   in Loop: Header=BB8_147 Depth=1
	s_or_b64 exec, exec, s[64:65]
	s_waitcnt lgkmcnt(0)
	s_barrier
	s_and_saveexec_b64 s[2:3], s[0:1]
	s_cbranch_execz .LBB8_146
; %bb.154:                              ;   in Loop: Header=BB8_147 Depth=1
	flat_load_dword v76, v[50:51]
	s_waitcnt vmcnt(0) lgkmcnt(0)
	v_add_f32_e32 v58, v58, v76
	s_branch .LBB8_146
.LBB8_155:
	v_mov_b32_e32 v58, 0
.LBB8_156:
	v_cmp_eq_u32_e64 s[0:1], 0, v52
	v_cmp_gt_i64_e64 s[2:3], s[62:63], 0
	s_and_b64 s[6:7], s[0:1], s[2:3]
	s_and_saveexec_b64 s[2:3], s[6:7]
	s_cbranch_execz .LBB8_169
; %bb.157:
	v_cmp_le_u64_e32 vcc, s[62:63], v[24:25]
	v_pk_mov_b32 v[0:1], v[24:25], v[24:25] op_sel:[0,1]
	s_and_saveexec_b64 s[6:7], vcc
	s_cbranch_execz .LBB8_159
; %bb.158:
	v_cvt_f32_u32_e32 v0, s62
	s_sub_i32 s8, 0, s62
	v_rcp_iflag_f32_e32 v0, v0
	v_mul_f32_e32 v0, 0x4f7ffffe, v0
	v_cvt_u32_f32_e32 v0, v0
	v_mul_lo_u32 v1, s8, v0
	v_mul_hi_u32 v1, v0, v1
	v_add_u32_e32 v0, v0, v1
	v_mul_hi_u32 v0, v24, v0
	v_mul_lo_u32 v0, v0, s62
	v_sub_u32_e32 v0, v24, v0
	v_subrev_u32_e32 v1, s62, v0
	v_cmp_le_u32_e32 vcc, s62, v0
	v_cndmask_b32_e32 v0, v0, v1, vcc
	v_subrev_u32_e32 v1, s62, v0
	v_cmp_le_u32_e32 vcc, s62, v0
	v_cndmask_b32_e32 v0, v0, v1, vcc
	v_mov_b32_e32 v1, 0
.LBB8_159:
	s_or_b64 exec, exec, s[6:7]
	s_load_dwordx2 s[4:5], s[4:5], 0x40
	v_pk_mov_b32 v[2:3], s[56:57], s[56:57] op_sel:[0,1]
	s_waitcnt lgkmcnt(0)
	v_mad_u64_u32 v[10:11], s[6:7], s33, v24, v[2:3]
	s_ashr_i32 s8, s33, 31
	v_mov_b32_e32 v2, v11
	v_cvt_f64_f32_e32 v[8:9], v58
	v_mad_u64_u32 v[2:3], s[6:7], s8, v24, v[2:3]
	v_div_scale_f64 v[12:13], s[6:7], s[4:5], s[4:5], v[8:9]
	v_mov_b32_e32 v11, v2
	v_rcp_f64_e32 v[14:15], v[12:13]
	v_lshlrev_b64 v[2:3], 2, v[10:11]
	v_mov_b32_e32 v5, s55
	v_add_co_u32_e32 v4, vcc, s54, v2
	v_add_u32_e32 v16, 0xc0, v0
	v_addc_co_u32_e32 v5, vcc, v5, v3, vcc
	global_store_dword v[4:5], v16, off
	v_fma_f64 v[16:17], -v[12:13], v[14:15], 1.0
	v_fmac_f64_e32 v[14:15], v[14:15], v[16:17]
	v_fma_f64 v[16:17], -v[12:13], v[14:15], 1.0
	v_fmac_f64_e32 v[14:15], v[14:15], v[16:17]
	v_div_scale_f64 v[16:17], vcc, v[8:9], s[4:5], v[8:9]
	v_mul_f64 v[18:19], v[16:17], v[14:15]
	v_fma_f64 v[12:13], -v[12:13], v[18:19], v[16:17]
	s_nop 1
	v_div_fmas_f64 v[12:13], v[12:13], v[14:15], v[18:19]
	v_div_fixup_f64 v[8:9], v[12:13], s[4:5], v[8:9]
	v_cvt_f32_f64_e32 v8, v[8:9]
	v_mov_b32_e32 v9, s53
	v_add_co_u32_e32 v14, vcc, s52, v2
	v_addc_co_u32_e32 v15, vcc, v9, v3, vcc
	v_cmp_lt_u64_e64 s[4:5], s[62:63], 2
	s_and_b64 vcc, exec, s[4:5]
	global_store_dword v[14:15], v8, off
	s_cbranch_vccnz .LBB8_169
; %bb.160:
	s_cmp_eq_u64 s[62:63], 2
	s_cbranch_scc1 .LBB8_165
; %bb.161:
	v_add_co_u32_e32 v2, vcc, 1, v0
	v_addc_co_u32_e32 v3, vcc, 0, v1, vcc
	s_add_u32 s4, s62, -1
	v_add_co_u32_e32 v12, vcc, 4, v4
	s_addc_u32 s5, s63, -1
	v_addc_co_u32_e32 v13, vcc, 0, v5, vcc
	s_and_b32 s6, s4, -2
	s_mov_b32 s7, s5
	v_add_co_u32_e32 v14, vcc, 4, v14
	v_pk_mov_b32 v[4:5], v[2:3], v[2:3] op_sel:[0,1]
	v_mov_b32_e32 v9, v8
	v_addc_co_u32_e32 v15, vcc, 0, v15, vcc
	s_mov_b64 s[8:9], s[6:7]
	v_pk_mov_b32 v[2:3], v[0:1], v[0:1] op_sel:[0,1]
.LBB8_162:                              ; =>This Inner Loop Header: Depth=1
	v_add_u32_e32 v17, 0xc1, v4
	v_add_co_u32_e32 v4, vcc, 2, v4
	v_addc_co_u32_e32 v5, vcc, 0, v5, vcc
	v_add_u32_e32 v16, 0xc1, v2
	v_add_co_u32_e32 v2, vcc, 2, v2
	v_addc_co_u32_e32 v3, vcc, 0, v3, vcc
	global_store_dwordx2 v[14:15], v[8:9], off
	v_add_co_u32_e32 v14, vcc, 8, v14
	v_addc_co_u32_e32 v15, vcc, 0, v15, vcc
	s_add_u32 s8, s8, -2
	global_store_dwordx2 v[12:13], v[16:17], off
	s_addc_u32 s9, s9, -1
	v_add_co_u32_e32 v12, vcc, 8, v12
	s_cmp_lg_u64 s[8:9], 0
	v_addc_co_u32_e32 v13, vcc, 0, v13, vcc
	s_cbranch_scc1 .LBB8_162
; %bb.163:
	s_cmp_eq_u64 s[4:5], s[6:7]
	s_cbranch_scc1 .LBB8_166
; %bb.164:
	v_mov_b32_e32 v1, s7
	v_add_co_u32_e32 v10, vcc, s6, v10
	s_or_b32 s4, s4, 1
	v_add_u32_e32 v0, s6, v0
	v_addc_co_u32_e32 v11, vcc, v11, v1, vcc
	s_cbranch_execnz .LBB8_167
	s_branch .LBB8_169
.LBB8_165:
	s_mov_b32 s4, 1
	s_cbranch_execnz .LBB8_167
	s_branch .LBB8_169
.LBB8_166:
	s_mov_b32 s4, 1
                                        ; implicit-def: $vgpr10_vgpr11
                                        ; implicit-def: $vgpr0
	s_branch .LBB8_169
.LBB8_167:
	v_add_u32_e32 v9, 0xc1, v0
	v_lshlrev_b64 v[0:1], 2, v[10:11]
	v_add_co_u32_e32 v2, vcc, 4, v0
	v_addc_co_u32_e32 v3, vcc, 0, v1, vcc
	v_mov_b32_e32 v1, s53
	v_add_co_u32_e32 v0, vcc, s52, v2
	v_addc_co_u32_e32 v1, vcc, v1, v3, vcc
	v_mov_b32_e32 v4, s55
	v_add_co_u32_e32 v2, vcc, s54, v2
	s_mov_b32 s5, 0
	v_addc_co_u32_e32 v3, vcc, v4, v3, vcc
	v_pk_mov_b32 v[4:5], s[62:63], s[62:63] op_sel:[0,1]
.LBB8_168:                              ; =>This Inner Loop Header: Depth=1
	global_store_dword v[2:3], v9, off
	global_store_dword v[0:1], v8, off
	v_add_co_u32_e32 v0, vcc, 4, v0
	v_addc_co_u32_e32 v1, vcc, 0, v1, vcc
	s_add_u32 s4, s4, 1
	v_add_co_u32_e32 v2, vcc, 4, v2
	v_addc_co_u32_e32 v3, vcc, 0, v3, vcc
	s_addc_u32 s5, s5, 0
	v_cmp_lt_u64_e32 vcc, s[4:5], v[4:5]
	v_add_u32_e32 v9, 1, v9
	s_cbranch_vccnz .LBB8_168
.LBB8_169:
	s_or_b64 exec, exec, s[2:3]
	v_cmp_gt_i64_e64 s[4:5], s[60:61], 0
	s_mov_b64 s[2:3], 0
	s_and_b64 s[0:1], s[0:1], s[4:5]
	s_waitcnt lgkmcnt(0)
	s_barrier
	s_and_b64 exec, exec, s[0:1]
	s_cbranch_execz .LBB8_176
; %bb.170:
	v_mad_u64_u32 v[0:1], s[0:1], s33, v24, 0
	s_ashr_i32 s4, s33, 31
	v_mov_b32_e32 v2, v1
	v_mad_u64_u32 v[2:3], s[0:1], s4, v24, v[2:3]
	v_mov_b32_e32 v1, v2
	v_lshlrev_b64 v[0:1], 2, v[0:1]
	v_mov_b32_e32 v2, s53
	v_add_co_u32_e32 v4, vcc, s52, v0
	v_addc_co_u32_e32 v5, vcc, v2, v1, vcc
	v_cmp_lt_u64_e64 s[0:1], s[60:61], 8
	s_and_b64 vcc, exec, s[0:1]
	s_cbranch_vccnz .LBB8_173
; %bb.171:
	s_and_b32 s3, s61, 0x7fffffff
	s_and_b32 s2, s60, -8
	s_mov_b64 s[0:1], 0
	s_mov_b64 s[4:5], s[2:3]
.LBB8_172:                              ; =>This Inner Loop Header: Depth=1
	v_mov_b32_e32 v1, s1
	v_add_co_u32_e32 v2, vcc, s0, v6
	v_addc_co_u32_e32 v3, vcc, v7, v1, vcc
	flat_load_dword v8, v[2:3]
	v_add_co_u32_e32 v0, vcc, s0, v4
	v_addc_co_u32_e32 v1, vcc, v5, v1, vcc
	s_add_u32 s0, s0, 32
	s_addc_u32 s1, s1, 0
	s_add_u32 s4, s4, -8
	s_addc_u32 s5, s5, -1
	s_cmp_lg_u64 s[4:5], 0
	s_waitcnt vmcnt(0) lgkmcnt(0)
	v_div_scale_f32 v9, s[6:7], v58, v58, v8
	v_rcp_f32_e32 v11, v9
	v_div_scale_f32 v10, vcc, v8, v58, v8
	v_fma_f32 v12, -v9, v11, 1.0
	v_fmac_f32_e32 v11, v12, v11
	v_mul_f32_e32 v12, v10, v11
	v_fma_f32 v13, -v9, v12, v10
	v_fmac_f32_e32 v12, v13, v11
	v_fma_f32 v9, -v9, v12, v10
	v_div_fmas_f32 v9, v9, v11, v12
	v_div_fixup_f32 v8, v9, v58, v8
	global_store_dword v[0:1], v8, off
	flat_load_dword v8, v[2:3] offset:4
	s_waitcnt vmcnt(0) lgkmcnt(0)
	v_div_scale_f32 v9, s[6:7], v58, v58, v8
	v_rcp_f32_e32 v11, v9
	v_div_scale_f32 v10, vcc, v8, v58, v8
	v_fma_f32 v12, -v9, v11, 1.0
	v_fmac_f32_e32 v11, v12, v11
	v_mul_f32_e32 v12, v10, v11
	v_fma_f32 v13, -v9, v12, v10
	v_fmac_f32_e32 v12, v13, v11
	v_fma_f32 v9, -v9, v12, v10
	v_div_fmas_f32 v9, v9, v11, v12
	v_div_fixup_f32 v8, v9, v58, v8
	global_store_dword v[0:1], v8, off offset:4
	flat_load_dword v8, v[2:3] offset:8
	s_waitcnt vmcnt(0) lgkmcnt(0)
	v_div_scale_f32 v9, s[6:7], v58, v58, v8
	v_rcp_f32_e32 v11, v9
	v_div_scale_f32 v10, vcc, v8, v58, v8
	v_fma_f32 v12, -v9, v11, 1.0
	v_fmac_f32_e32 v11, v12, v11
	v_mul_f32_e32 v12, v10, v11
	v_fma_f32 v13, -v9, v12, v10
	v_fmac_f32_e32 v12, v13, v11
	v_fma_f32 v9, -v9, v12, v10
	v_div_fmas_f32 v9, v9, v11, v12
	v_div_fixup_f32 v8, v9, v58, v8
	global_store_dword v[0:1], v8, off offset:8
	;; [unrolled: 14-line block ×7, first 2 shown]
	s_cbranch_scc1 .LBB8_172
.LBB8_173:
	s_and_b32 s0, s60, 7
	s_mov_b32 s1, 0
	s_cmp_eq_u64 s[0:1], 0
	s_cbranch_scc1 .LBB8_176
; %bb.174:
	s_mov_b64 s[4:5], s[0:1]
.LBB8_175:                              ; =>This Inner Loop Header: Depth=1
	s_lshl_b64 s[6:7], s[2:3], 2
	v_mov_b32_e32 v2, s7
	v_add_co_u32_e32 v0, vcc, s6, v6
	v_addc_co_u32_e32 v1, vcc, v7, v2, vcc
	flat_load_dword v3, v[0:1]
	v_add_co_u32_e32 v0, vcc, s6, v4
	v_addc_co_u32_e32 v1, vcc, v5, v2, vcc
	s_add_i32 s0, s2, 1
	s_add_u32 s4, s4, -1
	s_addc_u32 s5, s5, -1
	s_mov_b64 s[2:3], s[0:1]
	s_cmp_lg_u64 s[4:5], 0
	s_waitcnt vmcnt(0) lgkmcnt(0)
	v_div_scale_f32 v2, s[6:7], v58, v58, v3
	v_rcp_f32_e32 v8, v2
	v_div_scale_f32 v9, vcc, v3, v58, v3
	v_fma_f32 v10, -v2, v8, 1.0
	v_fmac_f32_e32 v8, v10, v8
	v_mul_f32_e32 v10, v9, v8
	v_fma_f32 v11, -v2, v10, v9
	v_fmac_f32_e32 v10, v11, v8
	v_fma_f32 v2, -v2, v10, v9
	v_div_fmas_f32 v2, v2, v8, v10
	v_div_fixup_f32 v2, v2, v58, v3
	global_store_dword v[0:1], v2, off
	s_cbranch_scc1 .LBB8_175
.LBB8_176:
	s_endpgm
	.section	.rodata,"a",@progbits
	.p2align	6, 0x0
	.amdhsa_kernel _Z21moe_fused_gate_kernelIDF16_Li24ELi192ELi8ELi1EEvPvS0_PfPilllldi
		.amdhsa_group_segment_fixed_size 0
		.amdhsa_private_segment_fixed_size 0
		.amdhsa_kernarg_size 76
		.amdhsa_user_sgpr_count 6
		.amdhsa_user_sgpr_private_segment_buffer 1
		.amdhsa_user_sgpr_dispatch_ptr 0
		.amdhsa_user_sgpr_queue_ptr 0
		.amdhsa_user_sgpr_kernarg_segment_ptr 1
		.amdhsa_user_sgpr_dispatch_id 0
		.amdhsa_user_sgpr_flat_scratch_init 0
		.amdhsa_user_sgpr_kernarg_preload_length 0
		.amdhsa_user_sgpr_kernarg_preload_offset 0
		.amdhsa_user_sgpr_private_segment_size 0
		.amdhsa_uses_dynamic_stack 0
		.amdhsa_system_sgpr_private_segment_wavefront_offset 0
		.amdhsa_system_sgpr_workgroup_id_x 1
		.amdhsa_system_sgpr_workgroup_id_y 0
		.amdhsa_system_sgpr_workgroup_id_z 0
		.amdhsa_system_sgpr_workgroup_info 0
		.amdhsa_system_vgpr_workitem_id 1
		.amdhsa_next_free_vgpr 81
		.amdhsa_next_free_sgpr 70
		.amdhsa_accum_offset 84
		.amdhsa_reserve_vcc 1
		.amdhsa_reserve_flat_scratch 0
		.amdhsa_float_round_mode_32 0
		.amdhsa_float_round_mode_16_64 0
		.amdhsa_float_denorm_mode_32 3
		.amdhsa_float_denorm_mode_16_64 3
		.amdhsa_dx10_clamp 1
		.amdhsa_ieee_mode 1
		.amdhsa_fp16_overflow 0
		.amdhsa_tg_split 0
		.amdhsa_exception_fp_ieee_invalid_op 0
		.amdhsa_exception_fp_denorm_src 0
		.amdhsa_exception_fp_ieee_div_zero 0
		.amdhsa_exception_fp_ieee_overflow 0
		.amdhsa_exception_fp_ieee_underflow 0
		.amdhsa_exception_fp_ieee_inexact 0
		.amdhsa_exception_int_div_zero 0
	.end_amdhsa_kernel
	.section	.text._Z21moe_fused_gate_kernelIDF16_Li24ELi192ELi8ELi1EEvPvS0_PfPilllldi,"axG",@progbits,_Z21moe_fused_gate_kernelIDF16_Li24ELi192ELi8ELi1EEvPvS0_PfPilllldi,comdat
.Lfunc_end8:
	.size	_Z21moe_fused_gate_kernelIDF16_Li24ELi192ELi8ELi1EEvPvS0_PfPilllldi, .Lfunc_end8-_Z21moe_fused_gate_kernelIDF16_Li24ELi192ELi8ELi1EEvPvS0_PfPilllldi
                                        ; -- End function
	.section	.AMDGPU.csdata,"",@progbits
; Kernel info:
; codeLenInByte = 10132
; NumSgprs: 74
; NumVgprs: 81
; NumAgprs: 0
; TotalNumVgprs: 81
; ScratchSize: 0
; MemoryBound: 1
; FloatMode: 240
; IeeeMode: 1
; LDSByteSize: 0 bytes/workgroup (compile time only)
; SGPRBlocks: 9
; VGPRBlocks: 10
; NumSGPRsForWavesPerEU: 74
; NumVGPRsForWavesPerEU: 81
; AccumOffset: 84
; Occupancy: 5
; WaveLimiterHint : 0
; COMPUTE_PGM_RSRC2:SCRATCH_EN: 0
; COMPUTE_PGM_RSRC2:USER_SGPR: 6
; COMPUTE_PGM_RSRC2:TRAP_HANDLER: 0
; COMPUTE_PGM_RSRC2:TGID_X_EN: 1
; COMPUTE_PGM_RSRC2:TGID_Y_EN: 0
; COMPUTE_PGM_RSRC2:TGID_Z_EN: 0
; COMPUTE_PGM_RSRC2:TIDIG_COMP_CNT: 1
; COMPUTE_PGM_RSRC3_GFX90A:ACCUM_OFFSET: 20
; COMPUTE_PGM_RSRC3_GFX90A:TG_SPLIT: 0
	.section	.text._Z21moe_fused_gate_kernelIfLi24ELi192ELi8ELi1EEvPvS0_PfPilllldi,"axG",@progbits,_Z21moe_fused_gate_kernelIfLi24ELi192ELi8ELi1EEvPvS0_PfPilllldi,comdat
	.protected	_Z21moe_fused_gate_kernelIfLi24ELi192ELi8ELi1EEvPvS0_PfPilllldi ; -- Begin function _Z21moe_fused_gate_kernelIfLi24ELi192ELi8ELi1EEvPvS0_PfPilllldi
	.globl	_Z21moe_fused_gate_kernelIfLi24ELi192ELi8ELi1EEvPvS0_PfPilllldi
	.p2align	8
	.type	_Z21moe_fused_gate_kernelIfLi24ELi192ELi8ELi1EEvPvS0_PfPilllldi,@function
_Z21moe_fused_gate_kernelIfLi24ELi192ELi8ELi1EEvPvS0_PfPilllldi: ; @_Z21moe_fused_gate_kernelIfLi24ELi192ELi8ELi1EEvPvS0_PfPilllldi
; %bb.0:
	s_load_dwordx16 s[48:63], s[4:5], 0x0
	v_and_b32_e32 v1, 0x3ff, v0
	v_bfe_u32 v0, v0, 10, 10
	v_add_u32_e32 v0, s6, v0
	v_lshrrev_b32_e32 v54, 3, v1
	v_mov_b32_e32 v52, 0
	v_lshl_add_u32 v48, v0, 3, v54
	v_mov_b32_e32 v49, v52
	s_waitcnt lgkmcnt(0)
	v_cmp_gt_i64_e32 vcc, s[56:57], v[48:49]
	s_and_saveexec_b64 s[0:1], vcc
	s_cbranch_execz .LBB9_176
; %bb.1:
	v_and_b32_e32 v50, 7, v1
	v_mov_b32_e32 v2, s48
	v_mov_b32_e32 v3, s49
	s_movk_i32 s0, 0x300
	v_mul_u32_u24_e32 v51, 24, v50
	v_mad_u64_u32 v[2:3], s[0:1], v48, s0, v[2:3]
	v_lshlrev_b32_e32 v53, 2, v51
	v_add_co_u32_e32 v56, vcc, v2, v53
	v_addc_co_u32_e32 v57, vcc, 0, v3, vcc
	global_load_dwordx4 v[24:27], v[56:57], off offset:80
	global_load_dwordx4 v[28:31], v[56:57], off offset:64
	;; [unrolled: 1-line block ×5, first 2 shown]
	global_load_dwordx4 v[44:47], v[56:57], off
	global_load_dwordx4 v[0:3], v53, s[50:51] offset:80
	global_load_dwordx4 v[4:7], v53, s[50:51] offset:64
	;; [unrolled: 1-line block ×5, first 2 shown]
	global_load_dwordx4 v[20:23], v53, s[50:51]
	s_waitcnt vmcnt(6)
	v_cmp_o_f32_e32 vcc, v44, v44
	s_and_saveexec_b64 s[0:1], vcc
	s_cbranch_execz .LBB9_3
; %bb.2:
	v_mul_f32_e32 v52, 0xbfb8aa3b, v44
	s_mov_b32 s2, 0xbfb8aa3b
	v_rndne_f32_e32 v53, v52
	v_sub_f32_e32 v55, v52, v53
	v_fma_f32 v52, v44, s2, -v52
	v_fmac_f32_e32 v52, 0xb2a5705f, v44
	v_add_f32_e32 v52, v55, v52
	v_exp_f32_e32 v52, v52
	v_cvt_i32_f32_e32 v53, v53
	s_mov_b32 s2, 0x42ce8ed0
	v_cmp_nlt_f32_e32 vcc, s2, v44
	s_mov_b32 s2, 0xc2b17218
	v_ldexp_f32 v52, v52, v53
	v_cndmask_b32_e32 v52, 0, v52, vcc
	v_mov_b32_e32 v53, 0x7f800000
	v_cmp_ngt_f32_e32 vcc, s2, v44
	v_cndmask_b32_e32 v44, v53, v52, vcc
	v_add_f32_e32 v44, 1.0, v44
	v_div_scale_f32 v52, s[2:3], v44, v44, 1.0
	v_rcp_f32_e32 v53, v52
	v_fma_f32 v55, -v52, v53, 1.0
	v_fmac_f32_e32 v53, v55, v53
	v_div_scale_f32 v55, vcc, 1.0, v44, 1.0
	v_mul_f32_e32 v56, v55, v53
	v_fma_f32 v57, -v52, v56, v55
	v_fmac_f32_e32 v56, v57, v53
	v_fma_f32 v52, -v52, v56, v55
	v_div_fmas_f32 v52, v52, v53, v56
	v_div_fixup_f32 v52, v52, v44, 1.0
.LBB9_3:
	s_or_b64 exec, exec, s[0:1]
	v_cmp_o_f32_e32 vcc, v45, v45
	v_mov_b32_e32 v44, 0
	v_mov_b32_e32 v53, 0
	s_and_saveexec_b64 s[0:1], vcc
	s_cbranch_execz .LBB9_5
; %bb.4:
	v_mul_f32_e32 v53, 0xbfb8aa3b, v45
	s_mov_b32 s2, 0xbfb8aa3b
	v_rndne_f32_e32 v55, v53
	v_sub_f32_e32 v56, v53, v55
	v_fma_f32 v53, v45, s2, -v53
	v_fmac_f32_e32 v53, 0xb2a5705f, v45
	v_add_f32_e32 v53, v56, v53
	v_exp_f32_e32 v53, v53
	v_cvt_i32_f32_e32 v55, v55
	s_mov_b32 s2, 0x42ce8ed0
	v_cmp_nlt_f32_e32 vcc, s2, v45
	s_mov_b32 s2, 0xc2b17218
	v_ldexp_f32 v53, v53, v55
	v_cndmask_b32_e32 v53, 0, v53, vcc
	v_mov_b32_e32 v55, 0x7f800000
	v_cmp_ngt_f32_e32 vcc, s2, v45
	v_cndmask_b32_e32 v45, v55, v53, vcc
	v_add_f32_e32 v45, 1.0, v45
	v_div_scale_f32 v53, s[2:3], v45, v45, 1.0
	v_rcp_f32_e32 v55, v53
	v_fma_f32 v56, -v53, v55, 1.0
	v_fmac_f32_e32 v55, v56, v55
	v_div_scale_f32 v56, vcc, 1.0, v45, 1.0
	v_mul_f32_e32 v57, v56, v55
	v_fma_f32 v58, -v53, v57, v56
	v_fmac_f32_e32 v57, v58, v55
	v_fma_f32 v53, -v53, v57, v56
	v_div_fmas_f32 v53, v53, v55, v57
	v_div_fixup_f32 v53, v53, v45, 1.0
.LBB9_5:
	s_or_b64 exec, exec, s[0:1]
	v_cmp_o_f32_e32 vcc, v46, v46
	s_and_saveexec_b64 s[0:1], vcc
	s_cbranch_execz .LBB9_7
; %bb.6:
	v_mul_f32_e32 v44, 0xbfb8aa3b, v46
	s_mov_b32 s2, 0xbfb8aa3b
	v_rndne_f32_e32 v45, v44
	v_sub_f32_e32 v55, v44, v45
	v_fma_f32 v44, v46, s2, -v44
	v_fmac_f32_e32 v44, 0xb2a5705f, v46
	v_add_f32_e32 v44, v55, v44
	v_exp_f32_e32 v44, v44
	v_cvt_i32_f32_e32 v45, v45
	s_mov_b32 s2, 0x42ce8ed0
	v_cmp_nlt_f32_e32 vcc, s2, v46
	s_mov_b32 s2, 0xc2b17218
	v_ldexp_f32 v44, v44, v45
	v_cndmask_b32_e32 v44, 0, v44, vcc
	v_mov_b32_e32 v45, 0x7f800000
	v_cmp_ngt_f32_e32 vcc, s2, v46
	v_cndmask_b32_e32 v44, v45, v44, vcc
	v_add_f32_e32 v44, 1.0, v44
	v_div_scale_f32 v45, s[2:3], v44, v44, 1.0
	v_rcp_f32_e32 v46, v45
	v_fma_f32 v55, -v45, v46, 1.0
	v_fmac_f32_e32 v46, v55, v46
	v_div_scale_f32 v55, vcc, 1.0, v44, 1.0
	v_mul_f32_e32 v56, v55, v46
	v_fma_f32 v57, -v45, v56, v55
	v_fmac_f32_e32 v56, v57, v46
	v_fma_f32 v45, -v45, v56, v55
	v_div_fmas_f32 v45, v45, v46, v56
	v_div_fixup_f32 v44, v45, v44, 1.0
.LBB9_7:
	s_or_b64 exec, exec, s[0:1]
	v_cmp_o_f32_e32 vcc, v47, v47
	v_mov_b32_e32 v45, 0
	v_mov_b32_e32 v46, 0
	s_and_saveexec_b64 s[0:1], vcc
	s_cbranch_execz .LBB9_9
; %bb.8:
	v_mul_f32_e32 v46, 0xbfb8aa3b, v47
	s_mov_b32 s2, 0xbfb8aa3b
	v_rndne_f32_e32 v55, v46
	v_sub_f32_e32 v56, v46, v55
	v_fma_f32 v46, v47, s2, -v46
	v_fmac_f32_e32 v46, 0xb2a5705f, v47
	v_add_f32_e32 v46, v56, v46
	v_exp_f32_e32 v46, v46
	v_cvt_i32_f32_e32 v55, v55
	s_mov_b32 s2, 0x42ce8ed0
	v_cmp_nlt_f32_e32 vcc, s2, v47
	s_mov_b32 s2, 0xc2b17218
	v_ldexp_f32 v46, v46, v55
	v_cndmask_b32_e32 v46, 0, v46, vcc
	v_mov_b32_e32 v55, 0x7f800000
	v_cmp_ngt_f32_e32 vcc, s2, v47
	v_cndmask_b32_e32 v46, v55, v46, vcc
	v_add_f32_e32 v46, 1.0, v46
	v_div_scale_f32 v47, s[2:3], v46, v46, 1.0
	v_rcp_f32_e32 v55, v47
	v_fma_f32 v56, -v47, v55, 1.0
	v_fmac_f32_e32 v55, v56, v55
	v_div_scale_f32 v56, vcc, 1.0, v46, 1.0
	v_mul_f32_e32 v57, v56, v55
	v_fma_f32 v58, -v47, v57, v56
	v_fmac_f32_e32 v57, v58, v55
	v_fma_f32 v47, -v47, v57, v56
	v_div_fmas_f32 v47, v47, v55, v57
	v_div_fixup_f32 v46, v47, v46, 1.0
.LBB9_9:
	s_or_b64 exec, exec, s[0:1]
	v_cmp_o_f32_e32 vcc, v40, v40
	s_and_saveexec_b64 s[0:1], vcc
	s_cbranch_execz .LBB9_11
; %bb.10:
	v_mul_f32_e32 v45, 0xbfb8aa3b, v40
	s_mov_b32 s2, 0xbfb8aa3b
	v_rndne_f32_e32 v47, v45
	v_sub_f32_e32 v55, v45, v47
	v_fma_f32 v45, v40, s2, -v45
	v_fmac_f32_e32 v45, 0xb2a5705f, v40
	v_add_f32_e32 v45, v55, v45
	v_exp_f32_e32 v45, v45
	v_cvt_i32_f32_e32 v47, v47
	s_mov_b32 s2, 0x42ce8ed0
	v_cmp_nlt_f32_e32 vcc, s2, v40
	s_mov_b32 s2, 0xc2b17218
	v_ldexp_f32 v45, v45, v47
	v_cndmask_b32_e32 v45, 0, v45, vcc
	v_mov_b32_e32 v47, 0x7f800000
	v_cmp_ngt_f32_e32 vcc, s2, v40
	v_cndmask_b32_e32 v40, v47, v45, vcc
	v_add_f32_e32 v40, 1.0, v40
	v_div_scale_f32 v45, s[2:3], v40, v40, 1.0
	v_rcp_f32_e32 v47, v45
	v_fma_f32 v55, -v45, v47, 1.0
	v_fmac_f32_e32 v47, v55, v47
	v_div_scale_f32 v55, vcc, 1.0, v40, 1.0
	v_mul_f32_e32 v56, v55, v47
	v_fma_f32 v57, -v45, v56, v55
	v_fmac_f32_e32 v56, v57, v47
	v_fma_f32 v45, -v45, v56, v55
	v_div_fmas_f32 v45, v45, v47, v56
	v_div_fixup_f32 v45, v45, v40, 1.0
.LBB9_11:
	s_or_b64 exec, exec, s[0:1]
	v_cmp_o_f32_e32 vcc, v41, v41
	v_mov_b32_e32 v40, 0
	v_mov_b32_e32 v47, 0
	s_and_saveexec_b64 s[0:1], vcc
	s_cbranch_execz .LBB9_13
; %bb.12:
	v_mul_f32_e32 v47, 0xbfb8aa3b, v41
	s_mov_b32 s2, 0xbfb8aa3b
	v_rndne_f32_e32 v55, v47
	v_sub_f32_e32 v56, v47, v55
	v_fma_f32 v47, v41, s2, -v47
	v_fmac_f32_e32 v47, 0xb2a5705f, v41
	v_add_f32_e32 v47, v56, v47
	v_exp_f32_e32 v47, v47
	v_cvt_i32_f32_e32 v55, v55
	s_mov_b32 s2, 0x42ce8ed0
	v_cmp_nlt_f32_e32 vcc, s2, v41
	s_mov_b32 s2, 0xc2b17218
	v_ldexp_f32 v47, v47, v55
	v_cndmask_b32_e32 v47, 0, v47, vcc
	v_mov_b32_e32 v55, 0x7f800000
	v_cmp_ngt_f32_e32 vcc, s2, v41
	v_cndmask_b32_e32 v41, v55, v47, vcc
	v_add_f32_e32 v41, 1.0, v41
	v_div_scale_f32 v47, s[2:3], v41, v41, 1.0
	v_rcp_f32_e32 v55, v47
	v_fma_f32 v56, -v47, v55, 1.0
	v_fmac_f32_e32 v55, v56, v55
	v_div_scale_f32 v56, vcc, 1.0, v41, 1.0
	v_mul_f32_e32 v57, v56, v55
	v_fma_f32 v58, -v47, v57, v56
	v_fmac_f32_e32 v57, v58, v55
	v_fma_f32 v47, -v47, v57, v56
	v_div_fmas_f32 v47, v47, v55, v57
	v_div_fixup_f32 v47, v47, v41, 1.0
.LBB9_13:
	s_or_b64 exec, exec, s[0:1]
	v_cmp_o_f32_e32 vcc, v42, v42
	s_and_saveexec_b64 s[0:1], vcc
	s_cbranch_execz .LBB9_15
; %bb.14:
	v_mul_f32_e32 v40, 0xbfb8aa3b, v42
	s_mov_b32 s2, 0xbfb8aa3b
	v_rndne_f32_e32 v41, v40
	v_sub_f32_e32 v55, v40, v41
	v_fma_f32 v40, v42, s2, -v40
	v_fmac_f32_e32 v40, 0xb2a5705f, v42
	v_add_f32_e32 v40, v55, v40
	v_exp_f32_e32 v40, v40
	v_cvt_i32_f32_e32 v41, v41
	s_mov_b32 s2, 0x42ce8ed0
	v_cmp_nlt_f32_e32 vcc, s2, v42
	s_mov_b32 s2, 0xc2b17218
	v_ldexp_f32 v40, v40, v41
	v_cndmask_b32_e32 v40, 0, v40, vcc
	v_mov_b32_e32 v41, 0x7f800000
	v_cmp_ngt_f32_e32 vcc, s2, v42
	v_cndmask_b32_e32 v40, v41, v40, vcc
	v_add_f32_e32 v40, 1.0, v40
	v_div_scale_f32 v41, s[2:3], v40, v40, 1.0
	v_rcp_f32_e32 v42, v41
	v_fma_f32 v55, -v41, v42, 1.0
	v_fmac_f32_e32 v42, v55, v42
	v_div_scale_f32 v55, vcc, 1.0, v40, 1.0
	v_mul_f32_e32 v56, v55, v42
	v_fma_f32 v57, -v41, v56, v55
	v_fmac_f32_e32 v56, v57, v42
	v_fma_f32 v41, -v41, v56, v55
	v_div_fmas_f32 v41, v41, v42, v56
	v_div_fixup_f32 v40, v41, v40, 1.0
.LBB9_15:
	s_or_b64 exec, exec, s[0:1]
	v_cmp_o_f32_e32 vcc, v43, v43
	v_mov_b32_e32 v41, 0
	v_mov_b32_e32 v42, 0
	s_and_saveexec_b64 s[0:1], vcc
	s_cbranch_execz .LBB9_17
; %bb.16:
	v_mul_f32_e32 v42, 0xbfb8aa3b, v43
	s_mov_b32 s2, 0xbfb8aa3b
	v_rndne_f32_e32 v55, v42
	v_sub_f32_e32 v56, v42, v55
	v_fma_f32 v42, v43, s2, -v42
	v_fmac_f32_e32 v42, 0xb2a5705f, v43
	v_add_f32_e32 v42, v56, v42
	v_exp_f32_e32 v42, v42
	v_cvt_i32_f32_e32 v55, v55
	s_mov_b32 s2, 0x42ce8ed0
	v_cmp_nlt_f32_e32 vcc, s2, v43
	s_mov_b32 s2, 0xc2b17218
	v_ldexp_f32 v42, v42, v55
	v_cndmask_b32_e32 v42, 0, v42, vcc
	v_mov_b32_e32 v55, 0x7f800000
	v_cmp_ngt_f32_e32 vcc, s2, v43
	v_cndmask_b32_e32 v42, v55, v42, vcc
	v_add_f32_e32 v42, 1.0, v42
	v_div_scale_f32 v43, s[2:3], v42, v42, 1.0
	v_rcp_f32_e32 v55, v43
	v_fma_f32 v56, -v43, v55, 1.0
	v_fmac_f32_e32 v55, v56, v55
	v_div_scale_f32 v56, vcc, 1.0, v42, 1.0
	v_mul_f32_e32 v57, v56, v55
	v_fma_f32 v58, -v43, v57, v56
	v_fmac_f32_e32 v57, v58, v55
	v_fma_f32 v43, -v43, v57, v56
	v_div_fmas_f32 v43, v43, v55, v57
	v_div_fixup_f32 v42, v43, v42, 1.0
.LBB9_17:
	s_or_b64 exec, exec, s[0:1]
	v_cmp_o_f32_e32 vcc, v36, v36
	s_and_saveexec_b64 s[0:1], vcc
	s_cbranch_execz .LBB9_19
; %bb.18:
	v_mul_f32_e32 v41, 0xbfb8aa3b, v36
	s_mov_b32 s2, 0xbfb8aa3b
	v_rndne_f32_e32 v43, v41
	v_sub_f32_e32 v55, v41, v43
	v_fma_f32 v41, v36, s2, -v41
	v_fmac_f32_e32 v41, 0xb2a5705f, v36
	v_add_f32_e32 v41, v55, v41
	v_exp_f32_e32 v41, v41
	v_cvt_i32_f32_e32 v43, v43
	s_mov_b32 s2, 0x42ce8ed0
	v_cmp_nlt_f32_e32 vcc, s2, v36
	s_mov_b32 s2, 0xc2b17218
	v_ldexp_f32 v41, v41, v43
	v_cndmask_b32_e32 v41, 0, v41, vcc
	v_mov_b32_e32 v43, 0x7f800000
	v_cmp_ngt_f32_e32 vcc, s2, v36
	v_cndmask_b32_e32 v36, v43, v41, vcc
	v_add_f32_e32 v36, 1.0, v36
	v_div_scale_f32 v41, s[2:3], v36, v36, 1.0
	v_rcp_f32_e32 v43, v41
	v_fma_f32 v55, -v41, v43, 1.0
	v_fmac_f32_e32 v43, v55, v43
	v_div_scale_f32 v55, vcc, 1.0, v36, 1.0
	v_mul_f32_e32 v56, v55, v43
	v_fma_f32 v57, -v41, v56, v55
	v_fmac_f32_e32 v56, v57, v43
	v_fma_f32 v41, -v41, v56, v55
	v_div_fmas_f32 v41, v41, v43, v56
	v_div_fixup_f32 v41, v41, v36, 1.0
.LBB9_19:
	s_or_b64 exec, exec, s[0:1]
	v_cmp_o_f32_e32 vcc, v37, v37
	v_mov_b32_e32 v36, 0
	v_mov_b32_e32 v43, 0
	s_and_saveexec_b64 s[0:1], vcc
	s_cbranch_execz .LBB9_21
; %bb.20:
	v_mul_f32_e32 v43, 0xbfb8aa3b, v37
	s_mov_b32 s2, 0xbfb8aa3b
	v_rndne_f32_e32 v55, v43
	v_sub_f32_e32 v56, v43, v55
	v_fma_f32 v43, v37, s2, -v43
	v_fmac_f32_e32 v43, 0xb2a5705f, v37
	v_add_f32_e32 v43, v56, v43
	v_exp_f32_e32 v43, v43
	v_cvt_i32_f32_e32 v55, v55
	s_mov_b32 s2, 0x42ce8ed0
	v_cmp_nlt_f32_e32 vcc, s2, v37
	s_mov_b32 s2, 0xc2b17218
	v_ldexp_f32 v43, v43, v55
	v_cndmask_b32_e32 v43, 0, v43, vcc
	v_mov_b32_e32 v55, 0x7f800000
	v_cmp_ngt_f32_e32 vcc, s2, v37
	v_cndmask_b32_e32 v37, v55, v43, vcc
	v_add_f32_e32 v37, 1.0, v37
	v_div_scale_f32 v43, s[2:3], v37, v37, 1.0
	v_rcp_f32_e32 v55, v43
	v_fma_f32 v56, -v43, v55, 1.0
	v_fmac_f32_e32 v55, v56, v55
	v_div_scale_f32 v56, vcc, 1.0, v37, 1.0
	v_mul_f32_e32 v57, v56, v55
	v_fma_f32 v58, -v43, v57, v56
	v_fmac_f32_e32 v57, v58, v55
	v_fma_f32 v43, -v43, v57, v56
	v_div_fmas_f32 v43, v43, v55, v57
	v_div_fixup_f32 v43, v43, v37, 1.0
.LBB9_21:
	s_or_b64 exec, exec, s[0:1]
	v_cmp_o_f32_e32 vcc, v38, v38
	s_and_saveexec_b64 s[0:1], vcc
	s_cbranch_execz .LBB9_23
; %bb.22:
	v_mul_f32_e32 v36, 0xbfb8aa3b, v38
	s_mov_b32 s2, 0xbfb8aa3b
	v_rndne_f32_e32 v37, v36
	v_sub_f32_e32 v55, v36, v37
	v_fma_f32 v36, v38, s2, -v36
	v_fmac_f32_e32 v36, 0xb2a5705f, v38
	v_add_f32_e32 v36, v55, v36
	v_exp_f32_e32 v36, v36
	v_cvt_i32_f32_e32 v37, v37
	s_mov_b32 s2, 0x42ce8ed0
	v_cmp_nlt_f32_e32 vcc, s2, v38
	s_mov_b32 s2, 0xc2b17218
	v_ldexp_f32 v36, v36, v37
	v_cndmask_b32_e32 v36, 0, v36, vcc
	v_mov_b32_e32 v37, 0x7f800000
	v_cmp_ngt_f32_e32 vcc, s2, v38
	v_cndmask_b32_e32 v36, v37, v36, vcc
	v_add_f32_e32 v36, 1.0, v36
	v_div_scale_f32 v37, s[2:3], v36, v36, 1.0
	v_rcp_f32_e32 v38, v37
	v_fma_f32 v55, -v37, v38, 1.0
	v_fmac_f32_e32 v38, v55, v38
	v_div_scale_f32 v55, vcc, 1.0, v36, 1.0
	v_mul_f32_e32 v56, v55, v38
	v_fma_f32 v57, -v37, v56, v55
	v_fmac_f32_e32 v56, v57, v38
	v_fma_f32 v37, -v37, v56, v55
	v_div_fmas_f32 v37, v37, v38, v56
	v_div_fixup_f32 v36, v37, v36, 1.0
.LBB9_23:
	s_or_b64 exec, exec, s[0:1]
	v_cmp_o_f32_e32 vcc, v39, v39
	v_mov_b32_e32 v37, 0
	v_mov_b32_e32 v38, 0
	s_and_saveexec_b64 s[0:1], vcc
	s_cbranch_execz .LBB9_25
; %bb.24:
	v_mul_f32_e32 v38, 0xbfb8aa3b, v39
	s_mov_b32 s2, 0xbfb8aa3b
	v_rndne_f32_e32 v55, v38
	v_sub_f32_e32 v56, v38, v55
	v_fma_f32 v38, v39, s2, -v38
	v_fmac_f32_e32 v38, 0xb2a5705f, v39
	v_add_f32_e32 v38, v56, v38
	v_exp_f32_e32 v38, v38
	v_cvt_i32_f32_e32 v55, v55
	s_mov_b32 s2, 0x42ce8ed0
	v_cmp_nlt_f32_e32 vcc, s2, v39
	s_mov_b32 s2, 0xc2b17218
	v_ldexp_f32 v38, v38, v55
	v_cndmask_b32_e32 v38, 0, v38, vcc
	v_mov_b32_e32 v55, 0x7f800000
	v_cmp_ngt_f32_e32 vcc, s2, v39
	v_cndmask_b32_e32 v38, v55, v38, vcc
	v_add_f32_e32 v38, 1.0, v38
	v_div_scale_f32 v39, s[2:3], v38, v38, 1.0
	v_rcp_f32_e32 v55, v39
	v_fma_f32 v56, -v39, v55, 1.0
	v_fmac_f32_e32 v55, v56, v55
	v_div_scale_f32 v56, vcc, 1.0, v38, 1.0
	v_mul_f32_e32 v57, v56, v55
	v_fma_f32 v58, -v39, v57, v56
	v_fmac_f32_e32 v57, v58, v55
	v_fma_f32 v39, -v39, v57, v56
	v_div_fmas_f32 v39, v39, v55, v57
	v_div_fixup_f32 v38, v39, v38, 1.0
.LBB9_25:
	s_or_b64 exec, exec, s[0:1]
	v_cmp_o_f32_e32 vcc, v32, v32
	s_and_saveexec_b64 s[0:1], vcc
	s_cbranch_execz .LBB9_27
; %bb.26:
	v_mul_f32_e32 v37, 0xbfb8aa3b, v32
	s_mov_b32 s2, 0xbfb8aa3b
	v_rndne_f32_e32 v39, v37
	v_sub_f32_e32 v55, v37, v39
	v_fma_f32 v37, v32, s2, -v37
	v_fmac_f32_e32 v37, 0xb2a5705f, v32
	v_add_f32_e32 v37, v55, v37
	v_exp_f32_e32 v37, v37
	v_cvt_i32_f32_e32 v39, v39
	s_mov_b32 s2, 0x42ce8ed0
	v_cmp_nlt_f32_e32 vcc, s2, v32
	s_mov_b32 s2, 0xc2b17218
	v_ldexp_f32 v37, v37, v39
	v_cndmask_b32_e32 v37, 0, v37, vcc
	v_mov_b32_e32 v39, 0x7f800000
	v_cmp_ngt_f32_e32 vcc, s2, v32
	v_cndmask_b32_e32 v32, v39, v37, vcc
	v_add_f32_e32 v32, 1.0, v32
	v_div_scale_f32 v37, s[2:3], v32, v32, 1.0
	v_rcp_f32_e32 v39, v37
	v_fma_f32 v55, -v37, v39, 1.0
	v_fmac_f32_e32 v39, v55, v39
	v_div_scale_f32 v55, vcc, 1.0, v32, 1.0
	v_mul_f32_e32 v56, v55, v39
	v_fma_f32 v57, -v37, v56, v55
	v_fmac_f32_e32 v56, v57, v39
	v_fma_f32 v37, -v37, v56, v55
	v_div_fmas_f32 v37, v37, v39, v56
	v_div_fixup_f32 v37, v37, v32, 1.0
.LBB9_27:
	s_or_b64 exec, exec, s[0:1]
	v_cmp_o_f32_e32 vcc, v33, v33
	v_mov_b32_e32 v32, 0
	v_mov_b32_e32 v39, 0
	s_and_saveexec_b64 s[0:1], vcc
	s_cbranch_execz .LBB9_29
; %bb.28:
	v_mul_f32_e32 v39, 0xbfb8aa3b, v33
	s_mov_b32 s2, 0xbfb8aa3b
	v_rndne_f32_e32 v55, v39
	v_sub_f32_e32 v56, v39, v55
	v_fma_f32 v39, v33, s2, -v39
	v_fmac_f32_e32 v39, 0xb2a5705f, v33
	v_add_f32_e32 v39, v56, v39
	v_exp_f32_e32 v39, v39
	v_cvt_i32_f32_e32 v55, v55
	s_mov_b32 s2, 0x42ce8ed0
	v_cmp_nlt_f32_e32 vcc, s2, v33
	s_mov_b32 s2, 0xc2b17218
	v_ldexp_f32 v39, v39, v55
	v_cndmask_b32_e32 v39, 0, v39, vcc
	v_mov_b32_e32 v55, 0x7f800000
	v_cmp_ngt_f32_e32 vcc, s2, v33
	v_cndmask_b32_e32 v33, v55, v39, vcc
	v_add_f32_e32 v33, 1.0, v33
	v_div_scale_f32 v39, s[2:3], v33, v33, 1.0
	v_rcp_f32_e32 v55, v39
	v_fma_f32 v56, -v39, v55, 1.0
	v_fmac_f32_e32 v55, v56, v55
	v_div_scale_f32 v56, vcc, 1.0, v33, 1.0
	v_mul_f32_e32 v57, v56, v55
	v_fma_f32 v58, -v39, v57, v56
	v_fmac_f32_e32 v57, v58, v55
	v_fma_f32 v39, -v39, v57, v56
	v_div_fmas_f32 v39, v39, v55, v57
	v_div_fixup_f32 v39, v39, v33, 1.0
.LBB9_29:
	s_or_b64 exec, exec, s[0:1]
	v_cmp_o_f32_e32 vcc, v34, v34
	s_and_saveexec_b64 s[0:1], vcc
	s_cbranch_execz .LBB9_31
; %bb.30:
	v_mul_f32_e32 v32, 0xbfb8aa3b, v34
	s_mov_b32 s2, 0xbfb8aa3b
	v_rndne_f32_e32 v33, v32
	v_sub_f32_e32 v55, v32, v33
	v_fma_f32 v32, v34, s2, -v32
	v_fmac_f32_e32 v32, 0xb2a5705f, v34
	v_add_f32_e32 v32, v55, v32
	v_exp_f32_e32 v32, v32
	v_cvt_i32_f32_e32 v33, v33
	s_mov_b32 s2, 0x42ce8ed0
	v_cmp_nlt_f32_e32 vcc, s2, v34
	s_mov_b32 s2, 0xc2b17218
	v_ldexp_f32 v32, v32, v33
	v_cndmask_b32_e32 v32, 0, v32, vcc
	v_mov_b32_e32 v33, 0x7f800000
	v_cmp_ngt_f32_e32 vcc, s2, v34
	v_cndmask_b32_e32 v32, v33, v32, vcc
	v_add_f32_e32 v32, 1.0, v32
	v_div_scale_f32 v33, s[2:3], v32, v32, 1.0
	v_rcp_f32_e32 v34, v33
	v_fma_f32 v55, -v33, v34, 1.0
	v_fmac_f32_e32 v34, v55, v34
	v_div_scale_f32 v55, vcc, 1.0, v32, 1.0
	v_mul_f32_e32 v56, v55, v34
	v_fma_f32 v57, -v33, v56, v55
	v_fmac_f32_e32 v56, v57, v34
	v_fma_f32 v33, -v33, v56, v55
	v_div_fmas_f32 v33, v33, v34, v56
	v_div_fixup_f32 v32, v33, v32, 1.0
.LBB9_31:
	s_or_b64 exec, exec, s[0:1]
	v_cmp_o_f32_e32 vcc, v35, v35
	v_mov_b32_e32 v33, 0
	v_mov_b32_e32 v34, 0
	s_and_saveexec_b64 s[0:1], vcc
	s_cbranch_execz .LBB9_33
; %bb.32:
	v_mul_f32_e32 v34, 0xbfb8aa3b, v35
	s_mov_b32 s2, 0xbfb8aa3b
	v_rndne_f32_e32 v55, v34
	v_sub_f32_e32 v56, v34, v55
	v_fma_f32 v34, v35, s2, -v34
	v_fmac_f32_e32 v34, 0xb2a5705f, v35
	v_add_f32_e32 v34, v56, v34
	v_exp_f32_e32 v34, v34
	v_cvt_i32_f32_e32 v55, v55
	s_mov_b32 s2, 0x42ce8ed0
	v_cmp_nlt_f32_e32 vcc, s2, v35
	s_mov_b32 s2, 0xc2b17218
	v_ldexp_f32 v34, v34, v55
	v_cndmask_b32_e32 v34, 0, v34, vcc
	v_mov_b32_e32 v55, 0x7f800000
	v_cmp_ngt_f32_e32 vcc, s2, v35
	v_cndmask_b32_e32 v34, v55, v34, vcc
	v_add_f32_e32 v34, 1.0, v34
	v_div_scale_f32 v35, s[2:3], v34, v34, 1.0
	v_rcp_f32_e32 v55, v35
	v_fma_f32 v56, -v35, v55, 1.0
	v_fmac_f32_e32 v55, v56, v55
	v_div_scale_f32 v56, vcc, 1.0, v34, 1.0
	v_mul_f32_e32 v57, v56, v55
	v_fma_f32 v58, -v35, v57, v56
	v_fmac_f32_e32 v57, v58, v55
	v_fma_f32 v35, -v35, v57, v56
	v_div_fmas_f32 v35, v35, v55, v57
	v_div_fixup_f32 v34, v35, v34, 1.0
.LBB9_33:
	s_or_b64 exec, exec, s[0:1]
	v_cmp_o_f32_e32 vcc, v28, v28
	s_and_saveexec_b64 s[0:1], vcc
	s_cbranch_execz .LBB9_35
; %bb.34:
	v_mul_f32_e32 v33, 0xbfb8aa3b, v28
	s_mov_b32 s2, 0xbfb8aa3b
	v_rndne_f32_e32 v35, v33
	v_sub_f32_e32 v55, v33, v35
	v_fma_f32 v33, v28, s2, -v33
	v_fmac_f32_e32 v33, 0xb2a5705f, v28
	v_add_f32_e32 v33, v55, v33
	v_exp_f32_e32 v33, v33
	v_cvt_i32_f32_e32 v35, v35
	s_mov_b32 s2, 0x42ce8ed0
	v_cmp_nlt_f32_e32 vcc, s2, v28
	s_mov_b32 s2, 0xc2b17218
	v_ldexp_f32 v33, v33, v35
	v_cndmask_b32_e32 v33, 0, v33, vcc
	v_mov_b32_e32 v35, 0x7f800000
	v_cmp_ngt_f32_e32 vcc, s2, v28
	v_cndmask_b32_e32 v28, v35, v33, vcc
	v_add_f32_e32 v28, 1.0, v28
	v_div_scale_f32 v33, s[2:3], v28, v28, 1.0
	v_rcp_f32_e32 v35, v33
	v_fma_f32 v55, -v33, v35, 1.0
	v_fmac_f32_e32 v35, v55, v35
	v_div_scale_f32 v55, vcc, 1.0, v28, 1.0
	v_mul_f32_e32 v56, v55, v35
	v_fma_f32 v57, -v33, v56, v55
	v_fmac_f32_e32 v56, v57, v35
	v_fma_f32 v33, -v33, v56, v55
	v_div_fmas_f32 v33, v33, v35, v56
	v_div_fixup_f32 v33, v33, v28, 1.0
.LBB9_35:
	s_or_b64 exec, exec, s[0:1]
	v_cmp_o_f32_e32 vcc, v29, v29
	v_mov_b32_e32 v28, 0
	v_mov_b32_e32 v35, 0
	s_and_saveexec_b64 s[0:1], vcc
	s_cbranch_execz .LBB9_37
; %bb.36:
	v_mul_f32_e32 v35, 0xbfb8aa3b, v29
	s_mov_b32 s2, 0xbfb8aa3b
	v_rndne_f32_e32 v55, v35
	v_sub_f32_e32 v56, v35, v55
	v_fma_f32 v35, v29, s2, -v35
	v_fmac_f32_e32 v35, 0xb2a5705f, v29
	v_add_f32_e32 v35, v56, v35
	v_exp_f32_e32 v35, v35
	v_cvt_i32_f32_e32 v55, v55
	s_mov_b32 s2, 0x42ce8ed0
	v_cmp_nlt_f32_e32 vcc, s2, v29
	s_mov_b32 s2, 0xc2b17218
	v_ldexp_f32 v35, v35, v55
	v_cndmask_b32_e32 v35, 0, v35, vcc
	v_mov_b32_e32 v55, 0x7f800000
	v_cmp_ngt_f32_e32 vcc, s2, v29
	v_cndmask_b32_e32 v29, v55, v35, vcc
	v_add_f32_e32 v29, 1.0, v29
	v_div_scale_f32 v35, s[2:3], v29, v29, 1.0
	v_rcp_f32_e32 v55, v35
	v_fma_f32 v56, -v35, v55, 1.0
	v_fmac_f32_e32 v55, v56, v55
	v_div_scale_f32 v56, vcc, 1.0, v29, 1.0
	v_mul_f32_e32 v57, v56, v55
	v_fma_f32 v58, -v35, v57, v56
	v_fmac_f32_e32 v57, v58, v55
	v_fma_f32 v35, -v35, v57, v56
	v_div_fmas_f32 v35, v35, v55, v57
	v_div_fixup_f32 v35, v35, v29, 1.0
.LBB9_37:
	s_or_b64 exec, exec, s[0:1]
	v_cmp_o_f32_e32 vcc, v30, v30
	s_and_saveexec_b64 s[0:1], vcc
	s_cbranch_execz .LBB9_39
; %bb.38:
	v_mul_f32_e32 v28, 0xbfb8aa3b, v30
	s_mov_b32 s2, 0xbfb8aa3b
	v_rndne_f32_e32 v29, v28
	v_sub_f32_e32 v55, v28, v29
	v_fma_f32 v28, v30, s2, -v28
	v_fmac_f32_e32 v28, 0xb2a5705f, v30
	v_add_f32_e32 v28, v55, v28
	v_exp_f32_e32 v28, v28
	v_cvt_i32_f32_e32 v29, v29
	s_mov_b32 s2, 0x42ce8ed0
	v_cmp_nlt_f32_e32 vcc, s2, v30
	s_mov_b32 s2, 0xc2b17218
	v_ldexp_f32 v28, v28, v29
	v_cndmask_b32_e32 v28, 0, v28, vcc
	v_mov_b32_e32 v29, 0x7f800000
	v_cmp_ngt_f32_e32 vcc, s2, v30
	v_cndmask_b32_e32 v28, v29, v28, vcc
	v_add_f32_e32 v28, 1.0, v28
	v_div_scale_f32 v29, s[2:3], v28, v28, 1.0
	v_rcp_f32_e32 v30, v29
	v_fma_f32 v55, -v29, v30, 1.0
	v_fmac_f32_e32 v30, v55, v30
	v_div_scale_f32 v55, vcc, 1.0, v28, 1.0
	v_mul_f32_e32 v56, v55, v30
	v_fma_f32 v57, -v29, v56, v55
	v_fmac_f32_e32 v56, v57, v30
	v_fma_f32 v29, -v29, v56, v55
	v_div_fmas_f32 v29, v29, v30, v56
	v_div_fixup_f32 v28, v29, v28, 1.0
.LBB9_39:
	s_or_b64 exec, exec, s[0:1]
	v_cmp_o_f32_e32 vcc, v31, v31
	v_mov_b32_e32 v29, 0
	v_mov_b32_e32 v30, 0
	s_and_saveexec_b64 s[0:1], vcc
	s_cbranch_execz .LBB9_41
; %bb.40:
	v_mul_f32_e32 v30, 0xbfb8aa3b, v31
	s_mov_b32 s2, 0xbfb8aa3b
	v_rndne_f32_e32 v55, v30
	v_sub_f32_e32 v56, v30, v55
	v_fma_f32 v30, v31, s2, -v30
	v_fmac_f32_e32 v30, 0xb2a5705f, v31
	v_add_f32_e32 v30, v56, v30
	v_exp_f32_e32 v30, v30
	v_cvt_i32_f32_e32 v55, v55
	s_mov_b32 s2, 0x42ce8ed0
	v_cmp_nlt_f32_e32 vcc, s2, v31
	s_mov_b32 s2, 0xc2b17218
	v_ldexp_f32 v30, v30, v55
	v_cndmask_b32_e32 v30, 0, v30, vcc
	v_mov_b32_e32 v55, 0x7f800000
	v_cmp_ngt_f32_e32 vcc, s2, v31
	v_cndmask_b32_e32 v30, v55, v30, vcc
	v_add_f32_e32 v30, 1.0, v30
	v_div_scale_f32 v31, s[2:3], v30, v30, 1.0
	v_rcp_f32_e32 v55, v31
	v_fma_f32 v56, -v31, v55, 1.0
	v_fmac_f32_e32 v55, v56, v55
	v_div_scale_f32 v56, vcc, 1.0, v30, 1.0
	v_mul_f32_e32 v57, v56, v55
	v_fma_f32 v58, -v31, v57, v56
	v_fmac_f32_e32 v57, v58, v55
	v_fma_f32 v31, -v31, v57, v56
	v_div_fmas_f32 v31, v31, v55, v57
	v_div_fixup_f32 v30, v31, v30, 1.0
.LBB9_41:
	s_or_b64 exec, exec, s[0:1]
	v_cmp_o_f32_e32 vcc, v24, v24
	s_and_saveexec_b64 s[0:1], vcc
	s_cbranch_execz .LBB9_43
; %bb.42:
	v_mul_f32_e32 v29, 0xbfb8aa3b, v24
	s_mov_b32 s2, 0xbfb8aa3b
	v_rndne_f32_e32 v31, v29
	v_sub_f32_e32 v55, v29, v31
	v_fma_f32 v29, v24, s2, -v29
	v_fmac_f32_e32 v29, 0xb2a5705f, v24
	v_add_f32_e32 v29, v55, v29
	v_exp_f32_e32 v29, v29
	v_cvt_i32_f32_e32 v31, v31
	s_mov_b32 s2, 0x42ce8ed0
	v_cmp_nlt_f32_e32 vcc, s2, v24
	s_mov_b32 s2, 0xc2b17218
	v_ldexp_f32 v29, v29, v31
	v_cndmask_b32_e32 v29, 0, v29, vcc
	v_mov_b32_e32 v31, 0x7f800000
	v_cmp_ngt_f32_e32 vcc, s2, v24
	v_cndmask_b32_e32 v24, v31, v29, vcc
	v_add_f32_e32 v24, 1.0, v24
	v_div_scale_f32 v29, s[2:3], v24, v24, 1.0
	v_rcp_f32_e32 v31, v29
	v_fma_f32 v55, -v29, v31, 1.0
	v_fmac_f32_e32 v31, v55, v31
	v_div_scale_f32 v55, vcc, 1.0, v24, 1.0
	v_mul_f32_e32 v56, v55, v31
	v_fma_f32 v57, -v29, v56, v55
	v_fmac_f32_e32 v56, v57, v31
	v_fma_f32 v29, -v29, v56, v55
	v_div_fmas_f32 v29, v29, v31, v56
	v_div_fixup_f32 v29, v29, v24, 1.0
.LBB9_43:
	s_or_b64 exec, exec, s[0:1]
	v_cmp_o_f32_e32 vcc, v25, v25
	v_mov_b32_e32 v24, 0
	v_mov_b32_e32 v31, 0
	s_and_saveexec_b64 s[0:1], vcc
	s_cbranch_execz .LBB9_45
; %bb.44:
	v_mul_f32_e32 v31, 0xbfb8aa3b, v25
	s_mov_b32 s2, 0xbfb8aa3b
	v_rndne_f32_e32 v55, v31
	v_sub_f32_e32 v56, v31, v55
	v_fma_f32 v31, v25, s2, -v31
	v_fmac_f32_e32 v31, 0xb2a5705f, v25
	v_add_f32_e32 v31, v56, v31
	v_exp_f32_e32 v31, v31
	v_cvt_i32_f32_e32 v55, v55
	s_mov_b32 s2, 0x42ce8ed0
	v_cmp_nlt_f32_e32 vcc, s2, v25
	s_mov_b32 s2, 0xc2b17218
	v_ldexp_f32 v31, v31, v55
	v_cndmask_b32_e32 v31, 0, v31, vcc
	v_mov_b32_e32 v55, 0x7f800000
	v_cmp_ngt_f32_e32 vcc, s2, v25
	v_cndmask_b32_e32 v25, v55, v31, vcc
	v_add_f32_e32 v25, 1.0, v25
	v_div_scale_f32 v31, s[2:3], v25, v25, 1.0
	v_rcp_f32_e32 v55, v31
	v_fma_f32 v56, -v31, v55, 1.0
	v_fmac_f32_e32 v55, v56, v55
	v_div_scale_f32 v56, vcc, 1.0, v25, 1.0
	v_mul_f32_e32 v57, v56, v55
	v_fma_f32 v58, -v31, v57, v56
	v_fmac_f32_e32 v57, v58, v55
	v_fma_f32 v31, -v31, v57, v56
	v_div_fmas_f32 v31, v31, v55, v57
	v_div_fixup_f32 v31, v31, v25, 1.0
.LBB9_45:
	s_or_b64 exec, exec, s[0:1]
	v_cmp_o_f32_e32 vcc, v26, v26
	s_and_saveexec_b64 s[0:1], vcc
	s_cbranch_execz .LBB9_47
; %bb.46:
	v_mul_f32_e32 v24, 0xbfb8aa3b, v26
	s_mov_b32 s2, 0xbfb8aa3b
	v_rndne_f32_e32 v25, v24
	v_sub_f32_e32 v55, v24, v25
	v_fma_f32 v24, v26, s2, -v24
	v_fmac_f32_e32 v24, 0xb2a5705f, v26
	v_add_f32_e32 v24, v55, v24
	v_exp_f32_e32 v24, v24
	v_cvt_i32_f32_e32 v25, v25
	s_mov_b32 s2, 0x42ce8ed0
	v_cmp_nlt_f32_e32 vcc, s2, v26
	s_mov_b32 s2, 0xc2b17218
	v_ldexp_f32 v24, v24, v25
	v_cndmask_b32_e32 v24, 0, v24, vcc
	v_mov_b32_e32 v25, 0x7f800000
	v_cmp_ngt_f32_e32 vcc, s2, v26
	v_cndmask_b32_e32 v24, v25, v24, vcc
	v_add_f32_e32 v24, 1.0, v24
	v_div_scale_f32 v25, s[2:3], v24, v24, 1.0
	v_rcp_f32_e32 v26, v25
	v_fma_f32 v55, -v25, v26, 1.0
	v_fmac_f32_e32 v26, v55, v26
	v_div_scale_f32 v55, vcc, 1.0, v24, 1.0
	v_mul_f32_e32 v56, v55, v26
	v_fma_f32 v57, -v25, v56, v55
	v_fmac_f32_e32 v56, v57, v26
	v_fma_f32 v25, -v25, v56, v55
	v_div_fmas_f32 v25, v25, v26, v56
	v_div_fixup_f32 v24, v25, v24, 1.0
.LBB9_47:
	s_or_b64 exec, exec, s[0:1]
	v_cmp_o_f32_e32 vcc, v27, v27
	v_mov_b32_e32 v25, 0
	s_and_saveexec_b64 s[0:1], vcc
	s_cbranch_execz .LBB9_49
; %bb.48:
	v_mul_f32_e32 v25, 0xbfb8aa3b, v27
	s_mov_b32 s2, 0xbfb8aa3b
	v_rndne_f32_e32 v26, v25
	v_sub_f32_e32 v55, v25, v26
	v_fma_f32 v25, v27, s2, -v25
	v_fmac_f32_e32 v25, 0xb2a5705f, v27
	v_add_f32_e32 v25, v55, v25
	v_exp_f32_e32 v25, v25
	v_cvt_i32_f32_e32 v26, v26
	s_mov_b32 s2, 0x42ce8ed0
	v_cmp_nlt_f32_e32 vcc, s2, v27
	s_mov_b32 s2, 0xc2b17218
	v_ldexp_f32 v25, v25, v26
	v_cndmask_b32_e32 v25, 0, v25, vcc
	v_mov_b32_e32 v26, 0x7f800000
	v_cmp_ngt_f32_e32 vcc, s2, v27
	v_cndmask_b32_e32 v25, v26, v25, vcc
	v_add_f32_e32 v25, 1.0, v25
	v_div_scale_f32 v26, s[2:3], v25, v25, 1.0
	v_rcp_f32_e32 v27, v26
	v_fma_f32 v55, -v26, v27, 1.0
	v_fmac_f32_e32 v27, v55, v27
	v_div_scale_f32 v55, vcc, 1.0, v25, 1.0
	v_mul_f32_e32 v56, v55, v27
	v_fma_f32 v57, -v26, v56, v55
	v_fmac_f32_e32 v56, v57, v27
	v_fma_f32 v26, -v26, v56, v55
	v_div_fmas_f32 v26, v26, v27, v56
	v_div_fixup_f32 v25, v26, v25, 1.0
.LBB9_49:
	s_or_b64 exec, exec, s[0:1]
	s_waitcnt vmcnt(0)
	v_add_f32_e32 v20, v20, v52
	v_add_f32_e32 v21, v21, v53
	v_max_f32_e32 v55, 0xff7fffff, v20
	s_mov_b32 s2, 0xff7fffff
	v_cmp_ngt_f32_e32 vcc, v21, v55
	v_mov_b32_e32 v26, v55
	v_mov_b32_e32 v27, v21
	s_and_saveexec_b64 s[0:1], vcc
	s_cbranch_execz .LBB9_53
; %bb.50:
	v_cmp_lt_f32_e32 vcc, s2, v21
	v_mov_b32_e32 v26, 0xff7fffff
	s_and_saveexec_b64 s[2:3], vcc
; %bb.51:
	v_mov_b32_e32 v26, v21
; %bb.52:
	s_or_b64 exec, exec, s[2:3]
	v_mov_b32_e32 v27, v55
.LBB9_53:
	s_or_b64 exec, exec, s[0:1]
	v_add_f32_e32 v22, v22, v44
	v_cmp_ngt_f32_e32 vcc, v22, v27
	v_mov_b32_e32 v56, v27
	v_mov_b32_e32 v55, v22
	s_and_saveexec_b64 s[0:1], vcc
	s_cbranch_execz .LBB9_57
; %bb.54:
	v_cmp_gt_f32_e32 vcc, v22, v26
	s_and_saveexec_b64 s[2:3], vcc
; %bb.55:
	v_mov_b32_e32 v26, v22
; %bb.56:
	s_or_b64 exec, exec, s[2:3]
	v_mov_b32_e32 v56, v26
	v_mov_b32_e32 v55, v27
.LBB9_57:
	s_or_b64 exec, exec, s[0:1]
	v_add_f32_e32 v23, v23, v46
	v_cmp_ngt_f32_e32 vcc, v23, v55
	v_mov_b32_e32 v57, v55
	v_mov_b32_e32 v26, v23
	s_and_saveexec_b64 s[0:1], vcc
	s_cbranch_execz .LBB9_61
; %bb.58:
	v_cmp_gt_f32_e32 vcc, v23, v56
	s_and_saveexec_b64 s[2:3], vcc
; %bb.59:
	v_mov_b32_e32 v56, v23
; %bb.60:
	s_or_b64 exec, exec, s[2:3]
	v_mov_b32_e32 v57, v56
	v_mov_b32_e32 v26, v55
.LBB9_61:
	;; [unrolled: 17-line block ×22, first 2 shown]
	s_or_b64 exec, exec, s[0:1]
	v_cmp_lt_i64_e64 s[0:1], s[58:59], 8
	s_and_b64 vcc, exec, s[0:1]
	s_cbranch_vccz .LBB9_144
; %bb.142:
	s_sub_u32 s6, 8, s58
	s_subb_u32 s7, 0, s59
	v_add_f32_e32 v0, v1, v3
	s_mov_b64 s[8:9], 0
	s_mov_b32 s10, 0x2aaaaaab
	v_mov_b32_e32 v1, 0x7f7fffff
.LBB9_143:                              ; =>This Inner Loop Header: Depth=1
	v_mov_b32_dpp v2, v51 quad_perm:[1,0,3,2] row_mask:0xf bank_mask:0xf
	v_mov_b32_dpp v3, v0 quad_perm:[1,0,3,2] row_mask:0xf bank_mask:0xf
	v_cmp_eq_f32_e64 s[0:1], v0, v3
	v_cmp_lt_i32_e64 s[2:3], v51, v2
	v_cmp_lt_f32_e32 vcc, v0, v3
	s_and_b64 s[0:1], s[2:3], s[0:1]
	s_or_b64 vcc, vcc, s[0:1]
	v_cndmask_b32_e32 v3, v3, v0, vcc
	v_cndmask_b32_e32 v2, v2, v51, vcc
	s_nop 0
	v_mov_b32_dpp v7, v3 quad_perm:[2,3,0,1] row_mask:0xf bank_mask:0xf
	v_mov_b32_dpp v6, v2 quad_perm:[2,3,0,1] row_mask:0xf bank_mask:0xf
	v_cmp_eq_f32_e32 vcc, v3, v7
	v_cmp_lt_i32_e64 s[0:1], v2, v6
	s_and_b64 vcc, vcc, s[0:1]
	v_cmp_lt_f32_e64 s[0:1], v3, v7
	v_cndmask_b32_e32 v26, v7, v3, vcc
	s_or_b64 vcc, s[0:1], vcc
	v_cndmask_b32_e64 v3, v26, v3, s[0:1]
	v_cndmask_b32_e32 v2, v6, v2, vcc
	s_add_u32 s8, s8, 1
	v_mov_b32_dpp v7, v3 row_half_mirror row_mask:0xf bank_mask:0xf
	v_mov_b32_dpp v6, v2 row_half_mirror row_mask:0xf bank_mask:0xf
	v_min_i32_e32 v26, v2, v6
	v_cmp_eq_f32_e32 vcc, v3, v7
	v_cndmask_b32_e32 v6, v6, v26, vcc
	v_cmp_lt_f32_e32 vcc, v3, v7
	v_cndmask_b32_e32 v2, v6, v2, vcc
	v_mul_hi_i32 v2, v2, s10
	v_lshrrev_b32_e32 v3, 31, v2
	v_ashrrev_i32_e32 v2, 2, v2
	v_add_u32_e32 v2, v2, v3
	s_addc_u32 s9, s9, 0
	v_cmp_eq_u32_e32 vcc, v50, v2
	v_pk_mov_b32 v[2:3], s[8:9], s[8:9] op_sel:[0,1]
	v_cndmask_b32_e32 v20, v20, v1, vcc
	v_cndmask_b32_e32 v0, v0, v1, vcc
	v_cmp_le_i64_e32 vcc, s[6:7], v[2:3]
	s_cbranch_vccz .LBB9_143
.LBB9_144:
	s_sub_u32 s56, s60, s62
	s_subb_u32 s57, s61, s63
	s_mov_b64 s[0:1], src_shared_base
	s_cmp_lg_u32 0, -1
	s_cselect_b32 s0, s1, 0
	s_cselect_b32 s1, 0, 0
	s_add_u32 s1, s1, 0xff
	s_addc_u32 s0, s0, 0
	s_and_b32 s1, s1, 0xffffff00
	v_mov_b32_e32 v0, s1
	v_mov_b32_e32 v1, s0
	v_lshlrev_b32_e32 v2, 2, v54
	v_mad_u64_u32 v[6:7], s[0:1], v2, s60, v[0:1]
	s_load_dword s33, s[4:5], 0x48
	v_mov_b32_e32 v0, v7
	v_mad_u64_u32 v[0:1], s[0:1], v2, s61, v[0:1]
	v_cmp_lt_i64_e64 s[0:1], s[56:57], 1
	v_mov_b32_e32 v7, v0
	s_and_b64 vcc, exec, s[0:1]
	v_cmp_eq_u32_e64 s[0:1], 0, v50
	s_cbranch_vccnz .LBB9_155
; %bb.145:
	s_waitcnt lgkmcnt(0)
	v_mad_u64_u32 v[0:1], s[2:3], s33, v48, 0
	s_ashr_i32 s6, s33, 31
	v_mov_b32_e32 v2, v1
	v_mad_u64_u32 v[2:3], s[2:3], s6, v48, v[2:3]
	v_mov_b32_e32 v1, v2
	v_lshlrev_b64 v[0:1], 2, v[0:1]
	v_mov_b32_e32 v2, s55
	v_add_co_u32_e32 v0, vcc, s54, v0
	v_addc_co_u32_e32 v1, vcc, v2, v1, vcc
	v_add_u32_e32 v54, 8, v51
	v_add_u32_e32 v60, 9, v51
	;; [unrolled: 1-line block ×16, first 2 shown]
	s_mov_b64 s[58:59], 0
	v_mov_b32_e32 v26, 0
	s_mov_b32 s68, 0x7f7fffff
	s_mov_b32 s69, 0x2aaaaaab
	v_mov_b32_e32 v75, 0xff7fffff
	v_pk_mov_b32 v[2:3], v[6:7], v[6:7] op_sel:[0,1]
	s_branch .LBB9_147
.LBB9_146:                              ;   in Loop: Header=BB9_147 Depth=1
	s_or_b64 exec, exec, s[2:3]
	v_add_co_u32_e32 v0, vcc, 4, v0
	s_add_u32 s58, s58, 1
	v_addc_co_u32_e32 v1, vcc, 0, v1, vcc
	s_addc_u32 s59, s59, 0
	v_add_co_u32_e32 v2, vcc, 4, v2
	v_addc_co_u32_e32 v3, vcc, 0, v3, vcc
	v_pk_mov_b32 v[76:77], s[58:59], s[58:59] op_sel:[0,1]
	v_cmp_le_i64_e32 vcc, s[56:57], v[76:77]
	s_cbranch_vccnz .LBB9_156
.LBB9_147:                              ; =>This Inner Loop Header: Depth=1
	v_cmp_neq_f32_e32 vcc, s68, v20
	v_mov_b32_e32 v76, 0xff7fffff
	v_mov_b32_e32 v77, v51
	s_and_saveexec_b64 s[2:3], vcc
	s_cbranch_execz .LBB9_149
; %bb.148:                              ;   in Loop: Header=BB9_147 Depth=1
	v_cmp_gt_f32_e32 vcc, v21, v20
	v_cndmask_b32_e32 v76, v20, v21, vcc
	v_cndmask_b32_e64 v77, 0, 1, vcc
	v_cmp_gt_f32_e32 vcc, v22, v76
	v_cndmask_b32_e32 v76, v76, v22, vcc
	v_cndmask_b32_e64 v77, v77, 2, vcc
	;; [unrolled: 3-line block ×7, first 2 shown]
	v_cmp_gt_f32_e32 vcc, v12, v76
	v_or_b32_e32 v77, v77, v51
	v_cndmask_b32_e32 v76, v76, v12, vcc
	v_cndmask_b32_e32 v77, v77, v54, vcc
	v_cmp_gt_f32_e32 vcc, v13, v76
	v_cndmask_b32_e32 v76, v76, v13, vcc
	v_cndmask_b32_e32 v77, v77, v60, vcc
	v_cmp_gt_f32_e32 vcc, v14, v76
	;; [unrolled: 3-line block ×15, first 2 shown]
	v_cndmask_b32_e32 v76, v76, v59, vcc
	v_cndmask_b32_e32 v77, v77, v74, vcc
.LBB9_149:                              ;   in Loop: Header=BB9_147 Depth=1
	s_or_b64 exec, exec, s[2:3]
	s_nop 0
	v_mov_b32_dpp v78, v77 quad_perm:[1,0,3,2] row_mask:0xf bank_mask:0xf
	v_mov_b32_dpp v79, v76 quad_perm:[1,0,3,2] row_mask:0xf bank_mask:0xf
	v_cmp_eq_f32_e64 s[2:3], v76, v79
	v_cmp_lt_i32_e64 s[6:7], v77, v78
	v_cmp_gt_f32_e32 vcc, v76, v79
	s_and_b64 s[2:3], s[2:3], s[6:7]
	s_or_b64 vcc, vcc, s[2:3]
	v_cndmask_b32_e32 v76, v79, v76, vcc
	v_cndmask_b32_e32 v77, v78, v77, vcc
	s_nop 0
	v_mov_b32_dpp v79, v76 quad_perm:[2,3,0,1] row_mask:0xf bank_mask:0xf
	v_mov_b32_dpp v78, v77 quad_perm:[2,3,0,1] row_mask:0xf bank_mask:0xf
	v_cmp_eq_f32_e32 vcc, v76, v79
	v_cmp_lt_i32_e64 s[2:3], v77, v78
	s_and_b64 vcc, vcc, s[2:3]
	v_cmp_gt_f32_e64 s[2:3], v76, v79
	v_cndmask_b32_e32 v80, v79, v76, vcc
	s_or_b64 vcc, s[2:3], vcc
	v_cndmask_b32_e64 v76, v80, v76, s[2:3]
	v_cndmask_b32_e32 v77, v78, v77, vcc
	s_nop 0
	v_mov_b32_dpp v79, v76 row_half_mirror row_mask:0xf bank_mask:0xf
	v_mov_b32_dpp v78, v77 row_half_mirror row_mask:0xf bank_mask:0xf
	v_min_i32_e32 v80, v77, v78
	v_cmp_eq_f32_e32 vcc, v76, v79
	v_cndmask_b32_e32 v78, v78, v80, vcc
	v_cmp_gt_f32_e32 vcc, v76, v79
	v_cndmask_b32_e32 v76, v78, v77, vcc
	v_mul_hi_i32 v77, v76, s69
	v_lshrrev_b32_e32 v78, 31, v77
	v_ashrrev_i32_e32 v77, 2, v77
	v_add_u32_e32 v77, v77, v78
	v_cmp_eq_u32_e32 vcc, v50, v77
	s_and_saveexec_b64 s[64:65], vcc
	s_cbranch_execz .LBB9_153
; %bb.150:                              ;   in Loop: Header=BB9_147 Depth=1
	v_sub_u32_e32 v77, v76, v51
	v_cmp_eq_u32_e32 vcc, 1, v77
	v_cmp_eq_u32_e64 s[2:3], 2, v77
	v_cmp_eq_u32_e64 s[6:7], 3, v77
	;; [unrolled: 1-line block ×22, first 2 shown]
	v_cmp_gt_u32_e64 s[50:51], 24, v77
	s_and_saveexec_b64 s[66:67], s[50:51]
	s_cbranch_execz .LBB9_152
; %bb.151:                              ;   in Loop: Header=BB9_147 Depth=1
	v_cndmask_b32_e32 v78, v52, v53, vcc
	v_cndmask_b32_e64 v78, v78, v44, s[2:3]
	v_cndmask_b32_e64 v78, v78, v46, s[6:7]
	;; [unrolled: 1-line block ×22, first 2 shown]
	flat_store_dword v[2:3], v78
.LBB9_152:                              ;   in Loop: Header=BB9_147 Depth=1
	s_or_b64 exec, exec, s[66:67]
	v_cmp_ne_u32_e64 s[50:51], 0, v77
	v_cndmask_b32_e64 v20, v75, v20, s[50:51]
	v_cndmask_b32_e32 v21, v21, v75, vcc
	v_cndmask_b32_e64 v22, v22, v75, s[2:3]
	v_cndmask_b32_e64 v23, v23, v75, s[6:7]
	;; [unrolled: 1-line block ×22, first 2 shown]
	global_store_dword v[0:1], v76, off
.LBB9_153:                              ;   in Loop: Header=BB9_147 Depth=1
	s_or_b64 exec, exec, s[64:65]
	s_waitcnt lgkmcnt(0)
	s_barrier
	s_and_saveexec_b64 s[2:3], s[0:1]
	s_cbranch_execz .LBB9_146
; %bb.154:                              ;   in Loop: Header=BB9_147 Depth=1
	flat_load_dword v76, v[2:3]
	s_waitcnt vmcnt(0) lgkmcnt(0)
	v_add_f32_e32 v26, v26, v76
	s_branch .LBB9_146
.LBB9_155:
	v_mov_b32_e32 v26, 0
.LBB9_156:
	v_cmp_eq_u32_e64 s[0:1], 0, v50
	v_cmp_gt_i64_e64 s[2:3], s[62:63], 0
	s_and_b64 s[6:7], s[0:1], s[2:3]
	s_and_saveexec_b64 s[2:3], s[6:7]
	s_cbranch_execz .LBB9_169
; %bb.157:
	v_cmp_le_u64_e32 vcc, s[62:63], v[48:49]
	v_pk_mov_b32 v[0:1], v[48:49], v[48:49] op_sel:[0,1]
	s_and_saveexec_b64 s[6:7], vcc
	s_cbranch_execz .LBB9_159
; %bb.158:
	v_cvt_f32_u32_e32 v0, s62
	s_sub_i32 s8, 0, s62
	v_rcp_iflag_f32_e32 v0, v0
	v_mul_f32_e32 v0, 0x4f7ffffe, v0
	v_cvt_u32_f32_e32 v0, v0
	v_mul_lo_u32 v1, s8, v0
	v_mul_hi_u32 v1, v0, v1
	v_add_u32_e32 v0, v0, v1
	v_mul_hi_u32 v0, v48, v0
	v_mul_lo_u32 v0, v0, s62
	v_sub_u32_e32 v0, v48, v0
	v_subrev_u32_e32 v1, s62, v0
	v_cmp_le_u32_e32 vcc, s62, v0
	v_cndmask_b32_e32 v0, v0, v1, vcc
	v_subrev_u32_e32 v1, s62, v0
	v_cmp_le_u32_e32 vcc, s62, v0
	v_cndmask_b32_e32 v0, v0, v1, vcc
	v_mov_b32_e32 v1, 0
.LBB9_159:
	s_or_b64 exec, exec, s[6:7]
	s_load_dwordx2 s[4:5], s[4:5], 0x40
	v_pk_mov_b32 v[2:3], s[56:57], s[56:57] op_sel:[0,1]
	s_waitcnt lgkmcnt(0)
	v_mad_u64_u32 v[10:11], s[6:7], s33, v48, v[2:3]
	s_ashr_i32 s8, s33, 31
	v_mov_b32_e32 v2, v11
	v_cvt_f64_f32_e32 v[8:9], v26
	v_mad_u64_u32 v[2:3], s[6:7], s8, v48, v[2:3]
	v_div_scale_f64 v[12:13], s[6:7], s[4:5], s[4:5], v[8:9]
	v_mov_b32_e32 v11, v2
	v_rcp_f64_e32 v[14:15], v[12:13]
	v_lshlrev_b64 v[2:3], 2, v[10:11]
	v_mov_b32_e32 v5, s55
	v_add_co_u32_e32 v4, vcc, s54, v2
	v_add_u32_e32 v16, 0xc0, v0
	v_addc_co_u32_e32 v5, vcc, v5, v3, vcc
	global_store_dword v[4:5], v16, off
	v_fma_f64 v[16:17], -v[12:13], v[14:15], 1.0
	v_fmac_f64_e32 v[14:15], v[14:15], v[16:17]
	v_fma_f64 v[16:17], -v[12:13], v[14:15], 1.0
	v_fmac_f64_e32 v[14:15], v[14:15], v[16:17]
	v_div_scale_f64 v[16:17], vcc, v[8:9], s[4:5], v[8:9]
	v_mul_f64 v[18:19], v[16:17], v[14:15]
	v_fma_f64 v[12:13], -v[12:13], v[18:19], v[16:17]
	s_nop 1
	v_div_fmas_f64 v[12:13], v[12:13], v[14:15], v[18:19]
	v_div_fixup_f64 v[8:9], v[12:13], s[4:5], v[8:9]
	v_cvt_f32_f64_e32 v8, v[8:9]
	v_mov_b32_e32 v9, s53
	v_add_co_u32_e32 v14, vcc, s52, v2
	v_addc_co_u32_e32 v15, vcc, v9, v3, vcc
	v_cmp_lt_u64_e64 s[4:5], s[62:63], 2
	s_and_b64 vcc, exec, s[4:5]
	global_store_dword v[14:15], v8, off
	s_cbranch_vccnz .LBB9_169
; %bb.160:
	s_cmp_eq_u64 s[62:63], 2
	s_cbranch_scc1 .LBB9_165
; %bb.161:
	v_add_co_u32_e32 v2, vcc, 1, v0
	v_addc_co_u32_e32 v3, vcc, 0, v1, vcc
	s_add_u32 s4, s62, -1
	v_add_co_u32_e32 v12, vcc, 4, v4
	s_addc_u32 s5, s63, -1
	v_addc_co_u32_e32 v13, vcc, 0, v5, vcc
	s_and_b32 s6, s4, -2
	s_mov_b32 s7, s5
	v_add_co_u32_e32 v14, vcc, 4, v14
	v_pk_mov_b32 v[4:5], v[2:3], v[2:3] op_sel:[0,1]
	v_mov_b32_e32 v9, v8
	v_addc_co_u32_e32 v15, vcc, 0, v15, vcc
	s_mov_b64 s[8:9], s[6:7]
	v_pk_mov_b32 v[2:3], v[0:1], v[0:1] op_sel:[0,1]
.LBB9_162:                              ; =>This Inner Loop Header: Depth=1
	v_add_u32_e32 v17, 0xc1, v4
	v_add_co_u32_e32 v4, vcc, 2, v4
	v_addc_co_u32_e32 v5, vcc, 0, v5, vcc
	v_add_u32_e32 v16, 0xc1, v2
	v_add_co_u32_e32 v2, vcc, 2, v2
	v_addc_co_u32_e32 v3, vcc, 0, v3, vcc
	global_store_dwordx2 v[14:15], v[8:9], off
	v_add_co_u32_e32 v14, vcc, 8, v14
	v_addc_co_u32_e32 v15, vcc, 0, v15, vcc
	s_add_u32 s8, s8, -2
	global_store_dwordx2 v[12:13], v[16:17], off
	s_addc_u32 s9, s9, -1
	v_add_co_u32_e32 v12, vcc, 8, v12
	s_cmp_lg_u64 s[8:9], 0
	v_addc_co_u32_e32 v13, vcc, 0, v13, vcc
	s_cbranch_scc1 .LBB9_162
; %bb.163:
	s_cmp_eq_u64 s[4:5], s[6:7]
	s_cbranch_scc1 .LBB9_166
; %bb.164:
	v_mov_b32_e32 v1, s7
	v_add_co_u32_e32 v10, vcc, s6, v10
	s_or_b32 s4, s4, 1
	v_add_u32_e32 v0, s6, v0
	v_addc_co_u32_e32 v11, vcc, v11, v1, vcc
	s_cbranch_execnz .LBB9_167
	s_branch .LBB9_169
.LBB9_165:
	s_mov_b32 s4, 1
	s_cbranch_execnz .LBB9_167
	s_branch .LBB9_169
.LBB9_166:
	s_mov_b32 s4, 1
                                        ; implicit-def: $vgpr10_vgpr11
                                        ; implicit-def: $vgpr0
	s_branch .LBB9_169
.LBB9_167:
	v_add_u32_e32 v9, 0xc1, v0
	v_lshlrev_b64 v[0:1], 2, v[10:11]
	v_add_co_u32_e32 v2, vcc, 4, v0
	v_addc_co_u32_e32 v3, vcc, 0, v1, vcc
	v_mov_b32_e32 v1, s53
	v_add_co_u32_e32 v0, vcc, s52, v2
	v_addc_co_u32_e32 v1, vcc, v1, v3, vcc
	v_mov_b32_e32 v4, s55
	v_add_co_u32_e32 v2, vcc, s54, v2
	s_mov_b32 s5, 0
	v_addc_co_u32_e32 v3, vcc, v4, v3, vcc
	v_pk_mov_b32 v[4:5], s[62:63], s[62:63] op_sel:[0,1]
.LBB9_168:                              ; =>This Inner Loop Header: Depth=1
	global_store_dword v[2:3], v9, off
	global_store_dword v[0:1], v8, off
	v_add_co_u32_e32 v0, vcc, 4, v0
	v_addc_co_u32_e32 v1, vcc, 0, v1, vcc
	s_add_u32 s4, s4, 1
	v_add_co_u32_e32 v2, vcc, 4, v2
	v_addc_co_u32_e32 v3, vcc, 0, v3, vcc
	s_addc_u32 s5, s5, 0
	v_cmp_lt_u64_e32 vcc, s[4:5], v[4:5]
	v_add_u32_e32 v9, 1, v9
	s_cbranch_vccnz .LBB9_168
.LBB9_169:
	s_or_b64 exec, exec, s[2:3]
	v_cmp_gt_i64_e64 s[4:5], s[60:61], 0
	s_mov_b64 s[2:3], 0
	s_and_b64 s[0:1], s[0:1], s[4:5]
	s_waitcnt lgkmcnt(0)
	s_barrier
	s_and_b64 exec, exec, s[0:1]
	s_cbranch_execz .LBB9_176
; %bb.170:
	v_mad_u64_u32 v[0:1], s[0:1], s33, v48, 0
	s_ashr_i32 s4, s33, 31
	v_mov_b32_e32 v2, v1
	v_mad_u64_u32 v[2:3], s[0:1], s4, v48, v[2:3]
	v_mov_b32_e32 v1, v2
	v_lshlrev_b64 v[0:1], 2, v[0:1]
	v_mov_b32_e32 v2, s53
	v_add_co_u32_e32 v4, vcc, s52, v0
	v_addc_co_u32_e32 v5, vcc, v2, v1, vcc
	v_cmp_lt_u64_e64 s[0:1], s[60:61], 8
	s_and_b64 vcc, exec, s[0:1]
	s_cbranch_vccnz .LBB9_173
; %bb.171:
	s_and_b32 s3, s61, 0x7fffffff
	s_and_b32 s2, s60, -8
	s_mov_b64 s[0:1], 0
	s_mov_b64 s[4:5], s[2:3]
.LBB9_172:                              ; =>This Inner Loop Header: Depth=1
	v_mov_b32_e32 v1, s1
	v_add_co_u32_e32 v2, vcc, s0, v6
	v_addc_co_u32_e32 v3, vcc, v7, v1, vcc
	flat_load_dword v8, v[2:3]
	v_add_co_u32_e32 v0, vcc, s0, v4
	v_addc_co_u32_e32 v1, vcc, v5, v1, vcc
	s_add_u32 s0, s0, 32
	s_addc_u32 s1, s1, 0
	s_add_u32 s4, s4, -8
	s_addc_u32 s5, s5, -1
	s_cmp_lg_u64 s[4:5], 0
	s_waitcnt vmcnt(0) lgkmcnt(0)
	v_div_scale_f32 v9, s[6:7], v26, v26, v8
	v_rcp_f32_e32 v11, v9
	v_div_scale_f32 v10, vcc, v8, v26, v8
	v_fma_f32 v12, -v9, v11, 1.0
	v_fmac_f32_e32 v11, v12, v11
	v_mul_f32_e32 v12, v10, v11
	v_fma_f32 v13, -v9, v12, v10
	v_fmac_f32_e32 v12, v13, v11
	v_fma_f32 v9, -v9, v12, v10
	v_div_fmas_f32 v9, v9, v11, v12
	v_div_fixup_f32 v8, v9, v26, v8
	global_store_dword v[0:1], v8, off
	flat_load_dword v8, v[2:3] offset:4
	s_waitcnt vmcnt(0) lgkmcnt(0)
	v_div_scale_f32 v9, s[6:7], v26, v26, v8
	v_rcp_f32_e32 v11, v9
	v_div_scale_f32 v10, vcc, v8, v26, v8
	v_fma_f32 v12, -v9, v11, 1.0
	v_fmac_f32_e32 v11, v12, v11
	v_mul_f32_e32 v12, v10, v11
	v_fma_f32 v13, -v9, v12, v10
	v_fmac_f32_e32 v12, v13, v11
	v_fma_f32 v9, -v9, v12, v10
	v_div_fmas_f32 v9, v9, v11, v12
	v_div_fixup_f32 v8, v9, v26, v8
	global_store_dword v[0:1], v8, off offset:4
	flat_load_dword v8, v[2:3] offset:8
	s_waitcnt vmcnt(0) lgkmcnt(0)
	v_div_scale_f32 v9, s[6:7], v26, v26, v8
	v_rcp_f32_e32 v11, v9
	v_div_scale_f32 v10, vcc, v8, v26, v8
	v_fma_f32 v12, -v9, v11, 1.0
	v_fmac_f32_e32 v11, v12, v11
	v_mul_f32_e32 v12, v10, v11
	v_fma_f32 v13, -v9, v12, v10
	v_fmac_f32_e32 v12, v13, v11
	v_fma_f32 v9, -v9, v12, v10
	v_div_fmas_f32 v9, v9, v11, v12
	v_div_fixup_f32 v8, v9, v26, v8
	global_store_dword v[0:1], v8, off offset:8
	;; [unrolled: 14-line block ×7, first 2 shown]
	s_cbranch_scc1 .LBB9_172
.LBB9_173:
	s_and_b32 s0, s60, 7
	s_mov_b32 s1, 0
	s_cmp_eq_u64 s[0:1], 0
	s_cbranch_scc1 .LBB9_176
; %bb.174:
	s_mov_b64 s[4:5], s[0:1]
.LBB9_175:                              ; =>This Inner Loop Header: Depth=1
	s_lshl_b64 s[6:7], s[2:3], 2
	v_mov_b32_e32 v2, s7
	v_add_co_u32_e32 v0, vcc, s6, v6
	v_addc_co_u32_e32 v1, vcc, v7, v2, vcc
	flat_load_dword v3, v[0:1]
	v_add_co_u32_e32 v0, vcc, s6, v4
	v_addc_co_u32_e32 v1, vcc, v5, v2, vcc
	s_add_i32 s0, s2, 1
	s_add_u32 s4, s4, -1
	s_addc_u32 s5, s5, -1
	s_mov_b64 s[2:3], s[0:1]
	s_cmp_lg_u64 s[4:5], 0
	s_waitcnt vmcnt(0) lgkmcnt(0)
	v_div_scale_f32 v2, s[6:7], v26, v26, v3
	v_rcp_f32_e32 v8, v2
	v_div_scale_f32 v9, vcc, v3, v26, v3
	v_fma_f32 v10, -v2, v8, 1.0
	v_fmac_f32_e32 v8, v10, v8
	v_mul_f32_e32 v10, v9, v8
	v_fma_f32 v11, -v2, v10, v9
	v_fmac_f32_e32 v10, v11, v8
	v_fma_f32 v2, -v2, v10, v9
	v_div_fmas_f32 v2, v2, v8, v10
	v_div_fixup_f32 v2, v2, v26, v3
	global_store_dword v[0:1], v2, off
	s_cbranch_scc1 .LBB9_175
.LBB9_176:
	s_endpgm
	.section	.rodata,"a",@progbits
	.p2align	6, 0x0
	.amdhsa_kernel _Z21moe_fused_gate_kernelIfLi24ELi192ELi8ELi1EEvPvS0_PfPilllldi
		.amdhsa_group_segment_fixed_size 0
		.amdhsa_private_segment_fixed_size 0
		.amdhsa_kernarg_size 76
		.amdhsa_user_sgpr_count 6
		.amdhsa_user_sgpr_private_segment_buffer 1
		.amdhsa_user_sgpr_dispatch_ptr 0
		.amdhsa_user_sgpr_queue_ptr 0
		.amdhsa_user_sgpr_kernarg_segment_ptr 1
		.amdhsa_user_sgpr_dispatch_id 0
		.amdhsa_user_sgpr_flat_scratch_init 0
		.amdhsa_user_sgpr_kernarg_preload_length 0
		.amdhsa_user_sgpr_kernarg_preload_offset 0
		.amdhsa_user_sgpr_private_segment_size 0
		.amdhsa_uses_dynamic_stack 0
		.amdhsa_system_sgpr_private_segment_wavefront_offset 0
		.amdhsa_system_sgpr_workgroup_id_x 1
		.amdhsa_system_sgpr_workgroup_id_y 0
		.amdhsa_system_sgpr_workgroup_id_z 0
		.amdhsa_system_sgpr_workgroup_info 0
		.amdhsa_system_vgpr_workitem_id 1
		.amdhsa_next_free_vgpr 81
		.amdhsa_next_free_sgpr 70
		.amdhsa_accum_offset 84
		.amdhsa_reserve_vcc 1
		.amdhsa_reserve_flat_scratch 0
		.amdhsa_float_round_mode_32 0
		.amdhsa_float_round_mode_16_64 0
		.amdhsa_float_denorm_mode_32 3
		.amdhsa_float_denorm_mode_16_64 3
		.amdhsa_dx10_clamp 1
		.amdhsa_ieee_mode 1
		.amdhsa_fp16_overflow 0
		.amdhsa_tg_split 0
		.amdhsa_exception_fp_ieee_invalid_op 0
		.amdhsa_exception_fp_denorm_src 0
		.amdhsa_exception_fp_ieee_div_zero 0
		.amdhsa_exception_fp_ieee_overflow 0
		.amdhsa_exception_fp_ieee_underflow 0
		.amdhsa_exception_fp_ieee_inexact 0
		.amdhsa_exception_int_div_zero 0
	.end_amdhsa_kernel
	.section	.text._Z21moe_fused_gate_kernelIfLi24ELi192ELi8ELi1EEvPvS0_PfPilllldi,"axG",@progbits,_Z21moe_fused_gate_kernelIfLi24ELi192ELi8ELi1EEvPvS0_PfPilllldi,comdat
.Lfunc_end9:
	.size	_Z21moe_fused_gate_kernelIfLi24ELi192ELi8ELi1EEvPvS0_PfPilllldi, .Lfunc_end9-_Z21moe_fused_gate_kernelIfLi24ELi192ELi8ELi1EEvPvS0_PfPilllldi
                                        ; -- End function
	.section	.AMDGPU.csdata,"",@progbits
; Kernel info:
; codeLenInByte = 9604
; NumSgprs: 74
; NumVgprs: 81
; NumAgprs: 0
; TotalNumVgprs: 81
; ScratchSize: 0
; MemoryBound: 1
; FloatMode: 240
; IeeeMode: 1
; LDSByteSize: 0 bytes/workgroup (compile time only)
; SGPRBlocks: 9
; VGPRBlocks: 10
; NumSGPRsForWavesPerEU: 74
; NumVGPRsForWavesPerEU: 81
; AccumOffset: 84
; Occupancy: 5
; WaveLimiterHint : 0
; COMPUTE_PGM_RSRC2:SCRATCH_EN: 0
; COMPUTE_PGM_RSRC2:USER_SGPR: 6
; COMPUTE_PGM_RSRC2:TRAP_HANDLER: 0
; COMPUTE_PGM_RSRC2:TGID_X_EN: 1
; COMPUTE_PGM_RSRC2:TGID_Y_EN: 0
; COMPUTE_PGM_RSRC2:TGID_Z_EN: 0
; COMPUTE_PGM_RSRC2:TIDIG_COMP_CNT: 1
; COMPUTE_PGM_RSRC3_GFX90A:ACCUM_OFFSET: 20
; COMPUTE_PGM_RSRC3_GFX90A:TG_SPLIT: 0
	.section	.text._Z21moe_fused_gate_kernelItLi32ELi128ELi4ELi1EEvPvS0_PfPilllldi,"axG",@progbits,_Z21moe_fused_gate_kernelItLi32ELi128ELi4ELi1EEvPvS0_PfPilllldi,comdat
	.protected	_Z21moe_fused_gate_kernelItLi32ELi128ELi4ELi1EEvPvS0_PfPilllldi ; -- Begin function _Z21moe_fused_gate_kernelItLi32ELi128ELi4ELi1EEvPvS0_PfPilllldi
	.globl	_Z21moe_fused_gate_kernelItLi32ELi128ELi4ELi1EEvPvS0_PfPilllldi
	.p2align	8
	.type	_Z21moe_fused_gate_kernelItLi32ELi128ELi4ELi1EEvPvS0_PfPilllldi,@function
_Z21moe_fused_gate_kernelItLi32ELi128ELi4ELi1EEvPvS0_PfPilllldi: ; @_Z21moe_fused_gate_kernelItLi32ELi128ELi4ELi1EEvPvS0_PfPilllldi
; %bb.0:
	s_load_dwordx16 s[64:79], s[4:5], 0x0
	v_and_b32_e32 v66, 0x3ff, v0
	v_bfe_u32 v0, v0, 10, 10
	v_add_u32_e32 v0, s6, v0
	v_lshrrev_b32_e32 v1, 2, v66
	v_mov_b32_e32 v69, 0
	v_lshl_add_u32 v32, v0, 4, v1
	v_mov_b32_e32 v33, v69
	s_waitcnt lgkmcnt(0)
	v_cmp_gt_i64_e32 vcc, s[72:73], v[32:33]
	s_and_saveexec_b64 s[0:1], vcc
	s_cbranch_execz .LBB10_224
; %bb.1:
	v_lshlrev_b64 v[0:1], 8, v[32:33]
	v_mov_b32_e32 v2, s65
	v_add_co_u32_e32 v0, vcc, s64, v0
	v_and_b32_e32 v68, 3, v66
	v_addc_co_u32_e32 v1, vcc, v2, v1, vcc
	v_lshlrev_b32_e32 v36, 6, v68
	v_add_co_u32_e32 v34, vcc, v0, v36
	v_addc_co_u32_e32 v35, vcc, 0, v1, vcc
	global_load_dwordx4 v[16:19], v[34:35], off offset:48
	global_load_dwordx4 v[20:23], v[34:35], off offset:32
	;; [unrolled: 1-line block ×3, first 2 shown]
	global_load_dwordx4 v[28:31], v[34:35], off
	global_load_dwordx4 v[0:3], v36, s[66:67] offset:48
	global_load_dwordx4 v[4:7], v36, s[66:67] offset:32
	;; [unrolled: 1-line block ×3, first 2 shown]
	global_load_dwordx4 v[12:15], v36, s[66:67]
	s_waitcnt vmcnt(4)
	v_lshlrev_b32_e32 v34, 16, v28
	v_cmp_o_f32_e32 vcc, v34, v34
	s_and_saveexec_b64 s[0:1], vcc
	s_cbranch_execz .LBB10_3
; %bb.2:
	v_mul_f32_e32 v35, 0xbfb8aa3b, v34
	s_mov_b32 s2, 0xbfb8aa3b
	v_rndne_f32_e32 v36, v35
	v_sub_f32_e32 v37, v35, v36
	v_fma_f32 v35, v34, s2, -v35
	v_fmac_f32_e32 v35, 0xb2a5705f, v34
	v_add_f32_e32 v35, v37, v35
	v_exp_f32_e32 v35, v35
	v_cvt_i32_f32_e32 v36, v36
	s_mov_b32 s2, 0x42ce8ed0
	v_cmp_nlt_f32_e32 vcc, s2, v34
	s_mov_b32 s2, 0xc2b17218
	v_ldexp_f32 v35, v35, v36
	v_cndmask_b32_e32 v35, 0, v35, vcc
	v_mov_b32_e32 v36, 0x7f800000
	v_cmp_ngt_f32_e32 vcc, s2, v34
	v_cndmask_b32_e32 v34, v36, v35, vcc
	v_add_f32_e32 v34, 1.0, v34
	v_div_scale_f32 v35, s[2:3], v34, v34, 1.0
	v_rcp_f32_e32 v36, v35
	v_fma_f32 v37, -v35, v36, 1.0
	v_fmac_f32_e32 v36, v37, v36
	v_div_scale_f32 v37, vcc, 1.0, v34, 1.0
	v_mul_f32_e32 v38, v37, v36
	v_fma_f32 v39, -v35, v38, v37
	v_fmac_f32_e32 v38, v39, v36
	v_fma_f32 v35, -v35, v38, v37
	v_div_fmas_f32 v35, v35, v36, v38
	v_div_fixup_f32 v69, v35, v34, 1.0
.LBB10_3:
	s_or_b64 exec, exec, s[0:1]
	v_and_b32_e32 v28, 0xffff0000, v28
	v_cmp_o_f32_e32 vcc, v28, v28
	v_mov_b32_e32 v35, 0
	v_mov_b32_e32 v34, 0
	s_and_saveexec_b64 s[0:1], vcc
	s_cbranch_execz .LBB10_5
; %bb.4:
	v_mul_f32_e32 v34, 0xbfb8aa3b, v28
	s_mov_b32 s2, 0xbfb8aa3b
	v_rndne_f32_e32 v36, v34
	v_sub_f32_e32 v37, v34, v36
	v_fma_f32 v34, v28, s2, -v34
	v_fmac_f32_e32 v34, 0xb2a5705f, v28
	v_add_f32_e32 v34, v37, v34
	v_exp_f32_e32 v34, v34
	v_cvt_i32_f32_e32 v36, v36
	s_mov_b32 s2, 0x42ce8ed0
	v_cmp_nlt_f32_e32 vcc, s2, v28
	s_mov_b32 s2, 0xc2b17218
	v_ldexp_f32 v34, v34, v36
	v_cndmask_b32_e32 v34, 0, v34, vcc
	v_mov_b32_e32 v36, 0x7f800000
	v_cmp_ngt_f32_e32 vcc, s2, v28
	v_cndmask_b32_e32 v28, v36, v34, vcc
	v_add_f32_e32 v28, 1.0, v28
	v_div_scale_f32 v34, s[2:3], v28, v28, 1.0
	v_rcp_f32_e32 v36, v34
	v_fma_f32 v37, -v34, v36, 1.0
	v_fmac_f32_e32 v36, v37, v36
	v_div_scale_f32 v37, vcc, 1.0, v28, 1.0
	v_mul_f32_e32 v38, v37, v36
	v_fma_f32 v39, -v34, v38, v37
	v_fmac_f32_e32 v38, v39, v36
	v_fma_f32 v34, -v34, v38, v37
	v_div_fmas_f32 v34, v34, v36, v38
	v_div_fixup_f32 v34, v34, v28, 1.0
.LBB10_5:
	s_or_b64 exec, exec, s[0:1]
	v_lshlrev_b32_e32 v28, 16, v29
	v_cmp_o_f32_e32 vcc, v28, v28
	s_and_saveexec_b64 s[0:1], vcc
	s_cbranch_execz .LBB10_7
; %bb.6:
	v_mul_f32_e32 v35, 0xbfb8aa3b, v28
	s_mov_b32 s2, 0xbfb8aa3b
	v_rndne_f32_e32 v36, v35
	v_sub_f32_e32 v37, v35, v36
	v_fma_f32 v35, v28, s2, -v35
	v_fmac_f32_e32 v35, 0xb2a5705f, v28
	v_add_f32_e32 v35, v37, v35
	v_exp_f32_e32 v35, v35
	v_cvt_i32_f32_e32 v36, v36
	s_mov_b32 s2, 0x42ce8ed0
	v_cmp_nlt_f32_e32 vcc, s2, v28
	s_mov_b32 s2, 0xc2b17218
	v_ldexp_f32 v35, v35, v36
	v_cndmask_b32_e32 v35, 0, v35, vcc
	v_mov_b32_e32 v36, 0x7f800000
	v_cmp_ngt_f32_e32 vcc, s2, v28
	v_cndmask_b32_e32 v28, v36, v35, vcc
	v_add_f32_e32 v28, 1.0, v28
	v_div_scale_f32 v35, s[2:3], v28, v28, 1.0
	v_rcp_f32_e32 v36, v35
	v_fma_f32 v37, -v35, v36, 1.0
	v_fmac_f32_e32 v36, v37, v36
	v_div_scale_f32 v37, vcc, 1.0, v28, 1.0
	v_mul_f32_e32 v38, v37, v36
	v_fma_f32 v39, -v35, v38, v37
	v_fmac_f32_e32 v38, v39, v36
	v_fma_f32 v35, -v35, v38, v37
	v_div_fmas_f32 v35, v35, v36, v38
	v_div_fixup_f32 v35, v35, v28, 1.0
.LBB10_7:
	s_or_b64 exec, exec, s[0:1]
	v_and_b32_e32 v36, 0xffff0000, v29
	v_cmp_o_f32_e32 vcc, v36, v36
	v_mov_b32_e32 v29, 0
	v_mov_b32_e32 v28, 0
	s_and_saveexec_b64 s[0:1], vcc
	s_cbranch_execz .LBB10_9
; %bb.8:
	v_mul_f32_e32 v28, 0xbfb8aa3b, v36
	s_mov_b32 s2, 0xbfb8aa3b
	v_rndne_f32_e32 v37, v28
	v_sub_f32_e32 v38, v28, v37
	v_fma_f32 v28, v36, s2, -v28
	v_fmac_f32_e32 v28, 0xb2a5705f, v36
	v_add_f32_e32 v28, v38, v28
	v_exp_f32_e32 v28, v28
	v_cvt_i32_f32_e32 v37, v37
	s_mov_b32 s2, 0x42ce8ed0
	v_cmp_nlt_f32_e32 vcc, s2, v36
	s_mov_b32 s2, 0xc2b17218
	v_ldexp_f32 v28, v28, v37
	v_cndmask_b32_e32 v28, 0, v28, vcc
	v_mov_b32_e32 v37, 0x7f800000
	v_cmp_ngt_f32_e32 vcc, s2, v36
	v_cndmask_b32_e32 v28, v37, v28, vcc
	v_add_f32_e32 v28, 1.0, v28
	v_div_scale_f32 v36, s[2:3], v28, v28, 1.0
	v_rcp_f32_e32 v37, v36
	v_fma_f32 v38, -v36, v37, 1.0
	v_fmac_f32_e32 v37, v38, v37
	v_div_scale_f32 v38, vcc, 1.0, v28, 1.0
	v_mul_f32_e32 v39, v38, v37
	v_fma_f32 v40, -v36, v39, v38
	v_fmac_f32_e32 v39, v40, v37
	v_fma_f32 v36, -v36, v39, v38
	v_div_fmas_f32 v36, v36, v37, v39
	v_div_fixup_f32 v28, v36, v28, 1.0
.LBB10_9:
	s_or_b64 exec, exec, s[0:1]
	v_lshlrev_b32_e32 v36, 16, v30
	v_cmp_o_f32_e32 vcc, v36, v36
	s_and_saveexec_b64 s[0:1], vcc
	s_cbranch_execz .LBB10_11
; %bb.10:
	v_mul_f32_e32 v29, 0xbfb8aa3b, v36
	s_mov_b32 s2, 0xbfb8aa3b
	v_rndne_f32_e32 v37, v29
	v_sub_f32_e32 v38, v29, v37
	v_fma_f32 v29, v36, s2, -v29
	v_fmac_f32_e32 v29, 0xb2a5705f, v36
	v_add_f32_e32 v29, v38, v29
	v_exp_f32_e32 v29, v29
	v_cvt_i32_f32_e32 v37, v37
	s_mov_b32 s2, 0x42ce8ed0
	v_cmp_nlt_f32_e32 vcc, s2, v36
	s_mov_b32 s2, 0xc2b17218
	v_ldexp_f32 v29, v29, v37
	v_cndmask_b32_e32 v29, 0, v29, vcc
	v_mov_b32_e32 v37, 0x7f800000
	v_cmp_ngt_f32_e32 vcc, s2, v36
	v_cndmask_b32_e32 v29, v37, v29, vcc
	v_add_f32_e32 v29, 1.0, v29
	v_div_scale_f32 v36, s[2:3], v29, v29, 1.0
	v_rcp_f32_e32 v37, v36
	v_fma_f32 v38, -v36, v37, 1.0
	v_fmac_f32_e32 v37, v38, v37
	v_div_scale_f32 v38, vcc, 1.0, v29, 1.0
	v_mul_f32_e32 v39, v38, v37
	v_fma_f32 v40, -v36, v39, v38
	v_fmac_f32_e32 v39, v40, v37
	v_fma_f32 v36, -v36, v39, v38
	v_div_fmas_f32 v36, v36, v37, v39
	v_div_fixup_f32 v29, v36, v29, 1.0
.LBB10_11:
	s_or_b64 exec, exec, s[0:1]
	v_and_b32_e32 v30, 0xffff0000, v30
	v_cmp_o_f32_e32 vcc, v30, v30
	v_mov_b32_e32 v37, 0
	v_mov_b32_e32 v36, 0
	s_and_saveexec_b64 s[0:1], vcc
	s_cbranch_execz .LBB10_13
; %bb.12:
	v_mul_f32_e32 v36, 0xbfb8aa3b, v30
	s_mov_b32 s2, 0xbfb8aa3b
	v_rndne_f32_e32 v38, v36
	v_sub_f32_e32 v39, v36, v38
	v_fma_f32 v36, v30, s2, -v36
	v_fmac_f32_e32 v36, 0xb2a5705f, v30
	v_add_f32_e32 v36, v39, v36
	v_exp_f32_e32 v36, v36
	v_cvt_i32_f32_e32 v38, v38
	s_mov_b32 s2, 0x42ce8ed0
	v_cmp_nlt_f32_e32 vcc, s2, v30
	s_mov_b32 s2, 0xc2b17218
	v_ldexp_f32 v36, v36, v38
	v_cndmask_b32_e32 v36, 0, v36, vcc
	v_mov_b32_e32 v38, 0x7f800000
	v_cmp_ngt_f32_e32 vcc, s2, v30
	v_cndmask_b32_e32 v30, v38, v36, vcc
	v_add_f32_e32 v30, 1.0, v30
	v_div_scale_f32 v36, s[2:3], v30, v30, 1.0
	v_rcp_f32_e32 v38, v36
	v_fma_f32 v39, -v36, v38, 1.0
	v_fmac_f32_e32 v38, v39, v38
	v_div_scale_f32 v39, vcc, 1.0, v30, 1.0
	v_mul_f32_e32 v40, v39, v38
	v_fma_f32 v41, -v36, v40, v39
	v_fmac_f32_e32 v40, v41, v38
	v_fma_f32 v36, -v36, v40, v39
	v_div_fmas_f32 v36, v36, v38, v40
	v_div_fixup_f32 v36, v36, v30, 1.0
.LBB10_13:
	s_or_b64 exec, exec, s[0:1]
	v_lshlrev_b32_e32 v30, 16, v31
	v_cmp_o_f32_e32 vcc, v30, v30
	s_and_saveexec_b64 s[0:1], vcc
	s_cbranch_execz .LBB10_15
; %bb.14:
	v_mul_f32_e32 v37, 0xbfb8aa3b, v30
	s_mov_b32 s2, 0xbfb8aa3b
	v_rndne_f32_e32 v38, v37
	v_sub_f32_e32 v39, v37, v38
	v_fma_f32 v37, v30, s2, -v37
	v_fmac_f32_e32 v37, 0xb2a5705f, v30
	v_add_f32_e32 v37, v39, v37
	v_exp_f32_e32 v37, v37
	v_cvt_i32_f32_e32 v38, v38
	s_mov_b32 s2, 0x42ce8ed0
	v_cmp_nlt_f32_e32 vcc, s2, v30
	s_mov_b32 s2, 0xc2b17218
	v_ldexp_f32 v37, v37, v38
	v_cndmask_b32_e32 v37, 0, v37, vcc
	v_mov_b32_e32 v38, 0x7f800000
	v_cmp_ngt_f32_e32 vcc, s2, v30
	v_cndmask_b32_e32 v30, v38, v37, vcc
	v_add_f32_e32 v30, 1.0, v30
	v_div_scale_f32 v37, s[2:3], v30, v30, 1.0
	v_rcp_f32_e32 v38, v37
	v_fma_f32 v39, -v37, v38, 1.0
	v_fmac_f32_e32 v38, v39, v38
	v_div_scale_f32 v39, vcc, 1.0, v30, 1.0
	v_mul_f32_e32 v40, v39, v38
	v_fma_f32 v41, -v37, v40, v39
	v_fmac_f32_e32 v40, v41, v38
	v_fma_f32 v37, -v37, v40, v39
	v_div_fmas_f32 v37, v37, v38, v40
	v_div_fixup_f32 v37, v37, v30, 1.0
.LBB10_15:
	s_or_b64 exec, exec, s[0:1]
	v_and_b32_e32 v38, 0xffff0000, v31
	v_cmp_o_f32_e32 vcc, v38, v38
	v_mov_b32_e32 v31, 0
	v_mov_b32_e32 v30, 0
	s_and_saveexec_b64 s[0:1], vcc
	s_cbranch_execz .LBB10_17
; %bb.16:
	v_mul_f32_e32 v30, 0xbfb8aa3b, v38
	s_mov_b32 s2, 0xbfb8aa3b
	v_rndne_f32_e32 v39, v30
	v_sub_f32_e32 v40, v30, v39
	v_fma_f32 v30, v38, s2, -v30
	v_fmac_f32_e32 v30, 0xb2a5705f, v38
	v_add_f32_e32 v30, v40, v30
	v_exp_f32_e32 v30, v30
	v_cvt_i32_f32_e32 v39, v39
	s_mov_b32 s2, 0x42ce8ed0
	v_cmp_nlt_f32_e32 vcc, s2, v38
	s_mov_b32 s2, 0xc2b17218
	v_ldexp_f32 v30, v30, v39
	v_cndmask_b32_e32 v30, 0, v30, vcc
	v_mov_b32_e32 v39, 0x7f800000
	v_cmp_ngt_f32_e32 vcc, s2, v38
	v_cndmask_b32_e32 v30, v39, v30, vcc
	v_add_f32_e32 v30, 1.0, v30
	v_div_scale_f32 v38, s[2:3], v30, v30, 1.0
	v_rcp_f32_e32 v39, v38
	v_fma_f32 v40, -v38, v39, 1.0
	v_fmac_f32_e32 v39, v40, v39
	v_div_scale_f32 v40, vcc, 1.0, v30, 1.0
	v_mul_f32_e32 v41, v40, v39
	v_fma_f32 v42, -v38, v41, v40
	v_fmac_f32_e32 v41, v42, v39
	v_fma_f32 v38, -v38, v41, v40
	v_div_fmas_f32 v38, v38, v39, v41
	v_div_fixup_f32 v30, v38, v30, 1.0
.LBB10_17:
	s_or_b64 exec, exec, s[0:1]
	v_lshlrev_b32_e32 v38, 16, v24
	v_cmp_o_f32_e32 vcc, v38, v38
	s_and_saveexec_b64 s[0:1], vcc
	s_cbranch_execz .LBB10_19
; %bb.18:
	v_mul_f32_e32 v31, 0xbfb8aa3b, v38
	s_mov_b32 s2, 0xbfb8aa3b
	v_rndne_f32_e32 v39, v31
	v_sub_f32_e32 v40, v31, v39
	v_fma_f32 v31, v38, s2, -v31
	v_fmac_f32_e32 v31, 0xb2a5705f, v38
	v_add_f32_e32 v31, v40, v31
	v_exp_f32_e32 v31, v31
	v_cvt_i32_f32_e32 v39, v39
	s_mov_b32 s2, 0x42ce8ed0
	v_cmp_nlt_f32_e32 vcc, s2, v38
	s_mov_b32 s2, 0xc2b17218
	v_ldexp_f32 v31, v31, v39
	v_cndmask_b32_e32 v31, 0, v31, vcc
	v_mov_b32_e32 v39, 0x7f800000
	v_cmp_ngt_f32_e32 vcc, s2, v38
	v_cndmask_b32_e32 v31, v39, v31, vcc
	v_add_f32_e32 v31, 1.0, v31
	v_div_scale_f32 v38, s[2:3], v31, v31, 1.0
	v_rcp_f32_e32 v39, v38
	v_fma_f32 v40, -v38, v39, 1.0
	v_fmac_f32_e32 v39, v40, v39
	v_div_scale_f32 v40, vcc, 1.0, v31, 1.0
	v_mul_f32_e32 v41, v40, v39
	v_fma_f32 v42, -v38, v41, v40
	v_fmac_f32_e32 v41, v42, v39
	v_fma_f32 v38, -v38, v41, v40
	v_div_fmas_f32 v38, v38, v39, v41
	v_div_fixup_f32 v31, v38, v31, 1.0
.LBB10_19:
	s_or_b64 exec, exec, s[0:1]
	v_and_b32_e32 v24, 0xffff0000, v24
	v_cmp_o_f32_e32 vcc, v24, v24
	v_mov_b32_e32 v39, 0
	v_mov_b32_e32 v38, 0
	s_and_saveexec_b64 s[0:1], vcc
	s_cbranch_execz .LBB10_21
; %bb.20:
	v_mul_f32_e32 v38, 0xbfb8aa3b, v24
	s_mov_b32 s2, 0xbfb8aa3b
	v_rndne_f32_e32 v40, v38
	v_sub_f32_e32 v41, v38, v40
	v_fma_f32 v38, v24, s2, -v38
	v_fmac_f32_e32 v38, 0xb2a5705f, v24
	v_add_f32_e32 v38, v41, v38
	v_exp_f32_e32 v38, v38
	v_cvt_i32_f32_e32 v40, v40
	s_mov_b32 s2, 0x42ce8ed0
	v_cmp_nlt_f32_e32 vcc, s2, v24
	s_mov_b32 s2, 0xc2b17218
	v_ldexp_f32 v38, v38, v40
	v_cndmask_b32_e32 v38, 0, v38, vcc
	v_mov_b32_e32 v40, 0x7f800000
	v_cmp_ngt_f32_e32 vcc, s2, v24
	v_cndmask_b32_e32 v24, v40, v38, vcc
	v_add_f32_e32 v24, 1.0, v24
	v_div_scale_f32 v38, s[2:3], v24, v24, 1.0
	v_rcp_f32_e32 v40, v38
	v_fma_f32 v41, -v38, v40, 1.0
	v_fmac_f32_e32 v40, v41, v40
	v_div_scale_f32 v41, vcc, 1.0, v24, 1.0
	v_mul_f32_e32 v42, v41, v40
	v_fma_f32 v43, -v38, v42, v41
	v_fmac_f32_e32 v42, v43, v40
	v_fma_f32 v38, -v38, v42, v41
	v_div_fmas_f32 v38, v38, v40, v42
	v_div_fixup_f32 v38, v38, v24, 1.0
.LBB10_21:
	s_or_b64 exec, exec, s[0:1]
	v_lshlrev_b32_e32 v24, 16, v25
	v_cmp_o_f32_e32 vcc, v24, v24
	s_and_saveexec_b64 s[0:1], vcc
	s_cbranch_execz .LBB10_23
; %bb.22:
	v_mul_f32_e32 v39, 0xbfb8aa3b, v24
	s_mov_b32 s2, 0xbfb8aa3b
	v_rndne_f32_e32 v40, v39
	v_sub_f32_e32 v41, v39, v40
	v_fma_f32 v39, v24, s2, -v39
	v_fmac_f32_e32 v39, 0xb2a5705f, v24
	v_add_f32_e32 v39, v41, v39
	v_exp_f32_e32 v39, v39
	v_cvt_i32_f32_e32 v40, v40
	s_mov_b32 s2, 0x42ce8ed0
	v_cmp_nlt_f32_e32 vcc, s2, v24
	s_mov_b32 s2, 0xc2b17218
	v_ldexp_f32 v39, v39, v40
	v_cndmask_b32_e32 v39, 0, v39, vcc
	v_mov_b32_e32 v40, 0x7f800000
	v_cmp_ngt_f32_e32 vcc, s2, v24
	v_cndmask_b32_e32 v24, v40, v39, vcc
	v_add_f32_e32 v24, 1.0, v24
	v_div_scale_f32 v39, s[2:3], v24, v24, 1.0
	v_rcp_f32_e32 v40, v39
	v_fma_f32 v41, -v39, v40, 1.0
	v_fmac_f32_e32 v40, v41, v40
	v_div_scale_f32 v41, vcc, 1.0, v24, 1.0
	v_mul_f32_e32 v42, v41, v40
	v_fma_f32 v43, -v39, v42, v41
	v_fmac_f32_e32 v42, v43, v40
	v_fma_f32 v39, -v39, v42, v41
	v_div_fmas_f32 v39, v39, v40, v42
	v_div_fixup_f32 v39, v39, v24, 1.0
.LBB10_23:
	s_or_b64 exec, exec, s[0:1]
	v_and_b32_e32 v40, 0xffff0000, v25
	v_cmp_o_f32_e32 vcc, v40, v40
	v_mov_b32_e32 v25, 0
	v_mov_b32_e32 v24, 0
	s_and_saveexec_b64 s[0:1], vcc
	s_cbranch_execz .LBB10_25
; %bb.24:
	v_mul_f32_e32 v24, 0xbfb8aa3b, v40
	s_mov_b32 s2, 0xbfb8aa3b
	v_rndne_f32_e32 v41, v24
	v_sub_f32_e32 v42, v24, v41
	v_fma_f32 v24, v40, s2, -v24
	v_fmac_f32_e32 v24, 0xb2a5705f, v40
	v_add_f32_e32 v24, v42, v24
	v_exp_f32_e32 v24, v24
	v_cvt_i32_f32_e32 v41, v41
	s_mov_b32 s2, 0x42ce8ed0
	v_cmp_nlt_f32_e32 vcc, s2, v40
	s_mov_b32 s2, 0xc2b17218
	v_ldexp_f32 v24, v24, v41
	v_cndmask_b32_e32 v24, 0, v24, vcc
	v_mov_b32_e32 v41, 0x7f800000
	v_cmp_ngt_f32_e32 vcc, s2, v40
	v_cndmask_b32_e32 v24, v41, v24, vcc
	v_add_f32_e32 v24, 1.0, v24
	v_div_scale_f32 v40, s[2:3], v24, v24, 1.0
	v_rcp_f32_e32 v41, v40
	v_fma_f32 v42, -v40, v41, 1.0
	v_fmac_f32_e32 v41, v42, v41
	v_div_scale_f32 v42, vcc, 1.0, v24, 1.0
	v_mul_f32_e32 v43, v42, v41
	v_fma_f32 v44, -v40, v43, v42
	v_fmac_f32_e32 v43, v44, v41
	v_fma_f32 v40, -v40, v43, v42
	v_div_fmas_f32 v40, v40, v41, v43
	v_div_fixup_f32 v24, v40, v24, 1.0
.LBB10_25:
	s_or_b64 exec, exec, s[0:1]
	v_lshlrev_b32_e32 v40, 16, v26
	v_cmp_o_f32_e32 vcc, v40, v40
	s_and_saveexec_b64 s[0:1], vcc
	s_cbranch_execz .LBB10_27
; %bb.26:
	v_mul_f32_e32 v25, 0xbfb8aa3b, v40
	s_mov_b32 s2, 0xbfb8aa3b
	v_rndne_f32_e32 v41, v25
	v_sub_f32_e32 v42, v25, v41
	v_fma_f32 v25, v40, s2, -v25
	v_fmac_f32_e32 v25, 0xb2a5705f, v40
	v_add_f32_e32 v25, v42, v25
	v_exp_f32_e32 v25, v25
	v_cvt_i32_f32_e32 v41, v41
	s_mov_b32 s2, 0x42ce8ed0
	v_cmp_nlt_f32_e32 vcc, s2, v40
	s_mov_b32 s2, 0xc2b17218
	v_ldexp_f32 v25, v25, v41
	v_cndmask_b32_e32 v25, 0, v25, vcc
	v_mov_b32_e32 v41, 0x7f800000
	v_cmp_ngt_f32_e32 vcc, s2, v40
	v_cndmask_b32_e32 v25, v41, v25, vcc
	v_add_f32_e32 v25, 1.0, v25
	v_div_scale_f32 v40, s[2:3], v25, v25, 1.0
	v_rcp_f32_e32 v41, v40
	v_fma_f32 v42, -v40, v41, 1.0
	v_fmac_f32_e32 v41, v42, v41
	v_div_scale_f32 v42, vcc, 1.0, v25, 1.0
	v_mul_f32_e32 v43, v42, v41
	v_fma_f32 v44, -v40, v43, v42
	v_fmac_f32_e32 v43, v44, v41
	v_fma_f32 v40, -v40, v43, v42
	v_div_fmas_f32 v40, v40, v41, v43
	v_div_fixup_f32 v25, v40, v25, 1.0
.LBB10_27:
	s_or_b64 exec, exec, s[0:1]
	v_and_b32_e32 v26, 0xffff0000, v26
	v_cmp_o_f32_e32 vcc, v26, v26
	v_mov_b32_e32 v41, 0
	v_mov_b32_e32 v40, 0
	s_and_saveexec_b64 s[0:1], vcc
	s_cbranch_execz .LBB10_29
; %bb.28:
	v_mul_f32_e32 v40, 0xbfb8aa3b, v26
	s_mov_b32 s2, 0xbfb8aa3b
	v_rndne_f32_e32 v42, v40
	v_sub_f32_e32 v43, v40, v42
	v_fma_f32 v40, v26, s2, -v40
	v_fmac_f32_e32 v40, 0xb2a5705f, v26
	v_add_f32_e32 v40, v43, v40
	v_exp_f32_e32 v40, v40
	v_cvt_i32_f32_e32 v42, v42
	s_mov_b32 s2, 0x42ce8ed0
	v_cmp_nlt_f32_e32 vcc, s2, v26
	s_mov_b32 s2, 0xc2b17218
	v_ldexp_f32 v40, v40, v42
	v_cndmask_b32_e32 v40, 0, v40, vcc
	v_mov_b32_e32 v42, 0x7f800000
	v_cmp_ngt_f32_e32 vcc, s2, v26
	v_cndmask_b32_e32 v26, v42, v40, vcc
	v_add_f32_e32 v26, 1.0, v26
	v_div_scale_f32 v40, s[2:3], v26, v26, 1.0
	v_rcp_f32_e32 v42, v40
	v_fma_f32 v43, -v40, v42, 1.0
	v_fmac_f32_e32 v42, v43, v42
	v_div_scale_f32 v43, vcc, 1.0, v26, 1.0
	v_mul_f32_e32 v44, v43, v42
	v_fma_f32 v45, -v40, v44, v43
	v_fmac_f32_e32 v44, v45, v42
	v_fma_f32 v40, -v40, v44, v43
	v_div_fmas_f32 v40, v40, v42, v44
	v_div_fixup_f32 v40, v40, v26, 1.0
.LBB10_29:
	s_or_b64 exec, exec, s[0:1]
	v_lshlrev_b32_e32 v26, 16, v27
	v_cmp_o_f32_e32 vcc, v26, v26
	s_and_saveexec_b64 s[0:1], vcc
	s_cbranch_execz .LBB10_31
; %bb.30:
	v_mul_f32_e32 v41, 0xbfb8aa3b, v26
	s_mov_b32 s2, 0xbfb8aa3b
	v_rndne_f32_e32 v42, v41
	v_sub_f32_e32 v43, v41, v42
	v_fma_f32 v41, v26, s2, -v41
	v_fmac_f32_e32 v41, 0xb2a5705f, v26
	v_add_f32_e32 v41, v43, v41
	v_exp_f32_e32 v41, v41
	v_cvt_i32_f32_e32 v42, v42
	s_mov_b32 s2, 0x42ce8ed0
	v_cmp_nlt_f32_e32 vcc, s2, v26
	s_mov_b32 s2, 0xc2b17218
	v_ldexp_f32 v41, v41, v42
	v_cndmask_b32_e32 v41, 0, v41, vcc
	v_mov_b32_e32 v42, 0x7f800000
	v_cmp_ngt_f32_e32 vcc, s2, v26
	v_cndmask_b32_e32 v26, v42, v41, vcc
	v_add_f32_e32 v26, 1.0, v26
	v_div_scale_f32 v41, s[2:3], v26, v26, 1.0
	v_rcp_f32_e32 v42, v41
	v_fma_f32 v43, -v41, v42, 1.0
	v_fmac_f32_e32 v42, v43, v42
	v_div_scale_f32 v43, vcc, 1.0, v26, 1.0
	v_mul_f32_e32 v44, v43, v42
	v_fma_f32 v45, -v41, v44, v43
	v_fmac_f32_e32 v44, v45, v42
	v_fma_f32 v41, -v41, v44, v43
	v_div_fmas_f32 v41, v41, v42, v44
	v_div_fixup_f32 v41, v41, v26, 1.0
.LBB10_31:
	s_or_b64 exec, exec, s[0:1]
	v_and_b32_e32 v42, 0xffff0000, v27
	v_cmp_o_f32_e32 vcc, v42, v42
	v_mov_b32_e32 v27, 0
	v_mov_b32_e32 v26, 0
	s_and_saveexec_b64 s[0:1], vcc
	s_cbranch_execz .LBB10_33
; %bb.32:
	v_mul_f32_e32 v26, 0xbfb8aa3b, v42
	s_mov_b32 s2, 0xbfb8aa3b
	v_rndne_f32_e32 v43, v26
	v_sub_f32_e32 v44, v26, v43
	v_fma_f32 v26, v42, s2, -v26
	v_fmac_f32_e32 v26, 0xb2a5705f, v42
	v_add_f32_e32 v26, v44, v26
	v_exp_f32_e32 v26, v26
	v_cvt_i32_f32_e32 v43, v43
	s_mov_b32 s2, 0x42ce8ed0
	v_cmp_nlt_f32_e32 vcc, s2, v42
	s_mov_b32 s2, 0xc2b17218
	v_ldexp_f32 v26, v26, v43
	v_cndmask_b32_e32 v26, 0, v26, vcc
	v_mov_b32_e32 v43, 0x7f800000
	v_cmp_ngt_f32_e32 vcc, s2, v42
	v_cndmask_b32_e32 v26, v43, v26, vcc
	v_add_f32_e32 v26, 1.0, v26
	v_div_scale_f32 v42, s[2:3], v26, v26, 1.0
	v_rcp_f32_e32 v43, v42
	v_fma_f32 v44, -v42, v43, 1.0
	v_fmac_f32_e32 v43, v44, v43
	v_div_scale_f32 v44, vcc, 1.0, v26, 1.0
	v_mul_f32_e32 v45, v44, v43
	v_fma_f32 v46, -v42, v45, v44
	v_fmac_f32_e32 v45, v46, v43
	v_fma_f32 v42, -v42, v45, v44
	v_div_fmas_f32 v42, v42, v43, v45
	v_div_fixup_f32 v26, v42, v26, 1.0
.LBB10_33:
	s_or_b64 exec, exec, s[0:1]
	v_lshlrev_b32_e32 v42, 16, v20
	v_cmp_o_f32_e32 vcc, v42, v42
	s_and_saveexec_b64 s[0:1], vcc
	s_cbranch_execz .LBB10_35
; %bb.34:
	v_mul_f32_e32 v27, 0xbfb8aa3b, v42
	s_mov_b32 s2, 0xbfb8aa3b
	v_rndne_f32_e32 v43, v27
	v_sub_f32_e32 v44, v27, v43
	v_fma_f32 v27, v42, s2, -v27
	v_fmac_f32_e32 v27, 0xb2a5705f, v42
	v_add_f32_e32 v27, v44, v27
	v_exp_f32_e32 v27, v27
	v_cvt_i32_f32_e32 v43, v43
	s_mov_b32 s2, 0x42ce8ed0
	v_cmp_nlt_f32_e32 vcc, s2, v42
	s_mov_b32 s2, 0xc2b17218
	v_ldexp_f32 v27, v27, v43
	v_cndmask_b32_e32 v27, 0, v27, vcc
	v_mov_b32_e32 v43, 0x7f800000
	v_cmp_ngt_f32_e32 vcc, s2, v42
	v_cndmask_b32_e32 v27, v43, v27, vcc
	v_add_f32_e32 v27, 1.0, v27
	v_div_scale_f32 v42, s[2:3], v27, v27, 1.0
	v_rcp_f32_e32 v43, v42
	v_fma_f32 v44, -v42, v43, 1.0
	v_fmac_f32_e32 v43, v44, v43
	v_div_scale_f32 v44, vcc, 1.0, v27, 1.0
	v_mul_f32_e32 v45, v44, v43
	v_fma_f32 v46, -v42, v45, v44
	v_fmac_f32_e32 v45, v46, v43
	v_fma_f32 v42, -v42, v45, v44
	v_div_fmas_f32 v42, v42, v43, v45
	v_div_fixup_f32 v27, v42, v27, 1.0
.LBB10_35:
	s_or_b64 exec, exec, s[0:1]
	v_and_b32_e32 v20, 0xffff0000, v20
	v_cmp_o_f32_e32 vcc, v20, v20
	v_mov_b32_e32 v43, 0
	v_mov_b32_e32 v42, 0
	s_and_saveexec_b64 s[0:1], vcc
	s_cbranch_execz .LBB10_37
; %bb.36:
	v_mul_f32_e32 v42, 0xbfb8aa3b, v20
	s_mov_b32 s2, 0xbfb8aa3b
	v_rndne_f32_e32 v44, v42
	v_sub_f32_e32 v45, v42, v44
	v_fma_f32 v42, v20, s2, -v42
	v_fmac_f32_e32 v42, 0xb2a5705f, v20
	v_add_f32_e32 v42, v45, v42
	v_exp_f32_e32 v42, v42
	v_cvt_i32_f32_e32 v44, v44
	s_mov_b32 s2, 0x42ce8ed0
	v_cmp_nlt_f32_e32 vcc, s2, v20
	s_mov_b32 s2, 0xc2b17218
	v_ldexp_f32 v42, v42, v44
	v_cndmask_b32_e32 v42, 0, v42, vcc
	v_mov_b32_e32 v44, 0x7f800000
	v_cmp_ngt_f32_e32 vcc, s2, v20
	v_cndmask_b32_e32 v20, v44, v42, vcc
	v_add_f32_e32 v20, 1.0, v20
	v_div_scale_f32 v42, s[2:3], v20, v20, 1.0
	v_rcp_f32_e32 v44, v42
	v_fma_f32 v45, -v42, v44, 1.0
	v_fmac_f32_e32 v44, v45, v44
	v_div_scale_f32 v45, vcc, 1.0, v20, 1.0
	v_mul_f32_e32 v46, v45, v44
	v_fma_f32 v47, -v42, v46, v45
	v_fmac_f32_e32 v46, v47, v44
	v_fma_f32 v42, -v42, v46, v45
	v_div_fmas_f32 v42, v42, v44, v46
	v_div_fixup_f32 v42, v42, v20, 1.0
.LBB10_37:
	s_or_b64 exec, exec, s[0:1]
	v_lshlrev_b32_e32 v20, 16, v21
	v_cmp_o_f32_e32 vcc, v20, v20
	s_and_saveexec_b64 s[0:1], vcc
	s_cbranch_execz .LBB10_39
; %bb.38:
	v_mul_f32_e32 v43, 0xbfb8aa3b, v20
	s_mov_b32 s2, 0xbfb8aa3b
	v_rndne_f32_e32 v44, v43
	v_sub_f32_e32 v45, v43, v44
	v_fma_f32 v43, v20, s2, -v43
	v_fmac_f32_e32 v43, 0xb2a5705f, v20
	v_add_f32_e32 v43, v45, v43
	v_exp_f32_e32 v43, v43
	v_cvt_i32_f32_e32 v44, v44
	s_mov_b32 s2, 0x42ce8ed0
	v_cmp_nlt_f32_e32 vcc, s2, v20
	s_mov_b32 s2, 0xc2b17218
	v_ldexp_f32 v43, v43, v44
	v_cndmask_b32_e32 v43, 0, v43, vcc
	v_mov_b32_e32 v44, 0x7f800000
	v_cmp_ngt_f32_e32 vcc, s2, v20
	v_cndmask_b32_e32 v20, v44, v43, vcc
	v_add_f32_e32 v20, 1.0, v20
	v_div_scale_f32 v43, s[2:3], v20, v20, 1.0
	v_rcp_f32_e32 v44, v43
	v_fma_f32 v45, -v43, v44, 1.0
	v_fmac_f32_e32 v44, v45, v44
	v_div_scale_f32 v45, vcc, 1.0, v20, 1.0
	v_mul_f32_e32 v46, v45, v44
	v_fma_f32 v47, -v43, v46, v45
	v_fmac_f32_e32 v46, v47, v44
	v_fma_f32 v43, -v43, v46, v45
	v_div_fmas_f32 v43, v43, v44, v46
	v_div_fixup_f32 v43, v43, v20, 1.0
.LBB10_39:
	s_or_b64 exec, exec, s[0:1]
	v_and_b32_e32 v44, 0xffff0000, v21
	v_cmp_o_f32_e32 vcc, v44, v44
	v_mov_b32_e32 v21, 0
	v_mov_b32_e32 v20, 0
	s_and_saveexec_b64 s[0:1], vcc
	s_cbranch_execz .LBB10_41
; %bb.40:
	v_mul_f32_e32 v20, 0xbfb8aa3b, v44
	s_mov_b32 s2, 0xbfb8aa3b
	v_rndne_f32_e32 v45, v20
	v_sub_f32_e32 v46, v20, v45
	v_fma_f32 v20, v44, s2, -v20
	v_fmac_f32_e32 v20, 0xb2a5705f, v44
	v_add_f32_e32 v20, v46, v20
	v_exp_f32_e32 v20, v20
	v_cvt_i32_f32_e32 v45, v45
	s_mov_b32 s2, 0x42ce8ed0
	v_cmp_nlt_f32_e32 vcc, s2, v44
	s_mov_b32 s2, 0xc2b17218
	v_ldexp_f32 v20, v20, v45
	v_cndmask_b32_e32 v20, 0, v20, vcc
	v_mov_b32_e32 v45, 0x7f800000
	v_cmp_ngt_f32_e32 vcc, s2, v44
	v_cndmask_b32_e32 v20, v45, v20, vcc
	v_add_f32_e32 v20, 1.0, v20
	v_div_scale_f32 v44, s[2:3], v20, v20, 1.0
	v_rcp_f32_e32 v45, v44
	v_fma_f32 v46, -v44, v45, 1.0
	v_fmac_f32_e32 v45, v46, v45
	v_div_scale_f32 v46, vcc, 1.0, v20, 1.0
	v_mul_f32_e32 v47, v46, v45
	v_fma_f32 v48, -v44, v47, v46
	v_fmac_f32_e32 v47, v48, v45
	v_fma_f32 v44, -v44, v47, v46
	v_div_fmas_f32 v44, v44, v45, v47
	v_div_fixup_f32 v20, v44, v20, 1.0
.LBB10_41:
	s_or_b64 exec, exec, s[0:1]
	v_lshlrev_b32_e32 v44, 16, v22
	v_cmp_o_f32_e32 vcc, v44, v44
	s_and_saveexec_b64 s[0:1], vcc
	s_cbranch_execz .LBB10_43
; %bb.42:
	v_mul_f32_e32 v21, 0xbfb8aa3b, v44
	s_mov_b32 s2, 0xbfb8aa3b
	v_rndne_f32_e32 v45, v21
	v_sub_f32_e32 v46, v21, v45
	v_fma_f32 v21, v44, s2, -v21
	v_fmac_f32_e32 v21, 0xb2a5705f, v44
	v_add_f32_e32 v21, v46, v21
	v_exp_f32_e32 v21, v21
	v_cvt_i32_f32_e32 v45, v45
	s_mov_b32 s2, 0x42ce8ed0
	v_cmp_nlt_f32_e32 vcc, s2, v44
	s_mov_b32 s2, 0xc2b17218
	v_ldexp_f32 v21, v21, v45
	v_cndmask_b32_e32 v21, 0, v21, vcc
	v_mov_b32_e32 v45, 0x7f800000
	v_cmp_ngt_f32_e32 vcc, s2, v44
	v_cndmask_b32_e32 v21, v45, v21, vcc
	v_add_f32_e32 v21, 1.0, v21
	v_div_scale_f32 v44, s[2:3], v21, v21, 1.0
	v_rcp_f32_e32 v45, v44
	v_fma_f32 v46, -v44, v45, 1.0
	v_fmac_f32_e32 v45, v46, v45
	v_div_scale_f32 v46, vcc, 1.0, v21, 1.0
	v_mul_f32_e32 v47, v46, v45
	v_fma_f32 v48, -v44, v47, v46
	v_fmac_f32_e32 v47, v48, v45
	v_fma_f32 v44, -v44, v47, v46
	v_div_fmas_f32 v44, v44, v45, v47
	v_div_fixup_f32 v21, v44, v21, 1.0
.LBB10_43:
	s_or_b64 exec, exec, s[0:1]
	v_and_b32_e32 v22, 0xffff0000, v22
	v_cmp_o_f32_e32 vcc, v22, v22
	v_mov_b32_e32 v45, 0
	v_mov_b32_e32 v44, 0
	s_and_saveexec_b64 s[0:1], vcc
	s_cbranch_execz .LBB10_45
; %bb.44:
	v_mul_f32_e32 v44, 0xbfb8aa3b, v22
	s_mov_b32 s2, 0xbfb8aa3b
	v_rndne_f32_e32 v46, v44
	v_sub_f32_e32 v47, v44, v46
	v_fma_f32 v44, v22, s2, -v44
	v_fmac_f32_e32 v44, 0xb2a5705f, v22
	v_add_f32_e32 v44, v47, v44
	v_exp_f32_e32 v44, v44
	v_cvt_i32_f32_e32 v46, v46
	s_mov_b32 s2, 0x42ce8ed0
	v_cmp_nlt_f32_e32 vcc, s2, v22
	s_mov_b32 s2, 0xc2b17218
	v_ldexp_f32 v44, v44, v46
	v_cndmask_b32_e32 v44, 0, v44, vcc
	v_mov_b32_e32 v46, 0x7f800000
	v_cmp_ngt_f32_e32 vcc, s2, v22
	v_cndmask_b32_e32 v22, v46, v44, vcc
	v_add_f32_e32 v22, 1.0, v22
	v_div_scale_f32 v44, s[2:3], v22, v22, 1.0
	v_rcp_f32_e32 v46, v44
	v_fma_f32 v47, -v44, v46, 1.0
	v_fmac_f32_e32 v46, v47, v46
	v_div_scale_f32 v47, vcc, 1.0, v22, 1.0
	v_mul_f32_e32 v48, v47, v46
	v_fma_f32 v49, -v44, v48, v47
	v_fmac_f32_e32 v48, v49, v46
	v_fma_f32 v44, -v44, v48, v47
	v_div_fmas_f32 v44, v44, v46, v48
	v_div_fixup_f32 v44, v44, v22, 1.0
.LBB10_45:
	s_or_b64 exec, exec, s[0:1]
	v_lshlrev_b32_e32 v22, 16, v23
	v_cmp_o_f32_e32 vcc, v22, v22
	s_and_saveexec_b64 s[0:1], vcc
	s_cbranch_execz .LBB10_47
; %bb.46:
	v_mul_f32_e32 v45, 0xbfb8aa3b, v22
	s_mov_b32 s2, 0xbfb8aa3b
	v_rndne_f32_e32 v46, v45
	v_sub_f32_e32 v47, v45, v46
	v_fma_f32 v45, v22, s2, -v45
	v_fmac_f32_e32 v45, 0xb2a5705f, v22
	v_add_f32_e32 v45, v47, v45
	v_exp_f32_e32 v45, v45
	v_cvt_i32_f32_e32 v46, v46
	s_mov_b32 s2, 0x42ce8ed0
	v_cmp_nlt_f32_e32 vcc, s2, v22
	s_mov_b32 s2, 0xc2b17218
	v_ldexp_f32 v45, v45, v46
	v_cndmask_b32_e32 v45, 0, v45, vcc
	v_mov_b32_e32 v46, 0x7f800000
	v_cmp_ngt_f32_e32 vcc, s2, v22
	v_cndmask_b32_e32 v22, v46, v45, vcc
	v_add_f32_e32 v22, 1.0, v22
	v_div_scale_f32 v45, s[2:3], v22, v22, 1.0
	v_rcp_f32_e32 v46, v45
	v_fma_f32 v47, -v45, v46, 1.0
	v_fmac_f32_e32 v46, v47, v46
	v_div_scale_f32 v47, vcc, 1.0, v22, 1.0
	v_mul_f32_e32 v48, v47, v46
	v_fma_f32 v49, -v45, v48, v47
	v_fmac_f32_e32 v48, v49, v46
	v_fma_f32 v45, -v45, v48, v47
	v_div_fmas_f32 v45, v45, v46, v48
	v_div_fixup_f32 v45, v45, v22, 1.0
.LBB10_47:
	s_or_b64 exec, exec, s[0:1]
	v_and_b32_e32 v46, 0xffff0000, v23
	v_cmp_o_f32_e32 vcc, v46, v46
	v_mov_b32_e32 v23, 0
	v_mov_b32_e32 v22, 0
	s_and_saveexec_b64 s[0:1], vcc
	s_cbranch_execz .LBB10_49
; %bb.48:
	v_mul_f32_e32 v22, 0xbfb8aa3b, v46
	s_mov_b32 s2, 0xbfb8aa3b
	v_rndne_f32_e32 v47, v22
	v_sub_f32_e32 v48, v22, v47
	v_fma_f32 v22, v46, s2, -v22
	v_fmac_f32_e32 v22, 0xb2a5705f, v46
	v_add_f32_e32 v22, v48, v22
	v_exp_f32_e32 v22, v22
	v_cvt_i32_f32_e32 v47, v47
	s_mov_b32 s2, 0x42ce8ed0
	v_cmp_nlt_f32_e32 vcc, s2, v46
	s_mov_b32 s2, 0xc2b17218
	v_ldexp_f32 v22, v22, v47
	v_cndmask_b32_e32 v22, 0, v22, vcc
	v_mov_b32_e32 v47, 0x7f800000
	v_cmp_ngt_f32_e32 vcc, s2, v46
	v_cndmask_b32_e32 v22, v47, v22, vcc
	v_add_f32_e32 v22, 1.0, v22
	v_div_scale_f32 v46, s[2:3], v22, v22, 1.0
	v_rcp_f32_e32 v47, v46
	v_fma_f32 v48, -v46, v47, 1.0
	v_fmac_f32_e32 v47, v48, v47
	v_div_scale_f32 v48, vcc, 1.0, v22, 1.0
	v_mul_f32_e32 v49, v48, v47
	v_fma_f32 v50, -v46, v49, v48
	v_fmac_f32_e32 v49, v50, v47
	v_fma_f32 v46, -v46, v49, v48
	v_div_fmas_f32 v46, v46, v47, v49
	v_div_fixup_f32 v22, v46, v22, 1.0
.LBB10_49:
	s_or_b64 exec, exec, s[0:1]
	v_lshlrev_b32_e32 v46, 16, v16
	v_cmp_o_f32_e32 vcc, v46, v46
	s_and_saveexec_b64 s[0:1], vcc
	s_cbranch_execz .LBB10_51
; %bb.50:
	v_mul_f32_e32 v23, 0xbfb8aa3b, v46
	s_mov_b32 s2, 0xbfb8aa3b
	v_rndne_f32_e32 v47, v23
	v_sub_f32_e32 v48, v23, v47
	v_fma_f32 v23, v46, s2, -v23
	v_fmac_f32_e32 v23, 0xb2a5705f, v46
	v_add_f32_e32 v23, v48, v23
	v_exp_f32_e32 v23, v23
	v_cvt_i32_f32_e32 v47, v47
	s_mov_b32 s2, 0x42ce8ed0
	v_cmp_nlt_f32_e32 vcc, s2, v46
	s_mov_b32 s2, 0xc2b17218
	v_ldexp_f32 v23, v23, v47
	v_cndmask_b32_e32 v23, 0, v23, vcc
	v_mov_b32_e32 v47, 0x7f800000
	v_cmp_ngt_f32_e32 vcc, s2, v46
	v_cndmask_b32_e32 v23, v47, v23, vcc
	v_add_f32_e32 v23, 1.0, v23
	v_div_scale_f32 v46, s[2:3], v23, v23, 1.0
	v_rcp_f32_e32 v47, v46
	v_fma_f32 v48, -v46, v47, 1.0
	v_fmac_f32_e32 v47, v48, v47
	v_div_scale_f32 v48, vcc, 1.0, v23, 1.0
	v_mul_f32_e32 v49, v48, v47
	v_fma_f32 v50, -v46, v49, v48
	v_fmac_f32_e32 v49, v50, v47
	v_fma_f32 v46, -v46, v49, v48
	v_div_fmas_f32 v46, v46, v47, v49
	v_div_fixup_f32 v23, v46, v23, 1.0
.LBB10_51:
	s_or_b64 exec, exec, s[0:1]
	v_and_b32_e32 v16, 0xffff0000, v16
	v_cmp_o_f32_e32 vcc, v16, v16
	v_mov_b32_e32 v47, 0
	v_mov_b32_e32 v46, 0
	s_and_saveexec_b64 s[0:1], vcc
	s_cbranch_execz .LBB10_53
; %bb.52:
	v_mul_f32_e32 v46, 0xbfb8aa3b, v16
	s_mov_b32 s2, 0xbfb8aa3b
	v_rndne_f32_e32 v48, v46
	v_sub_f32_e32 v49, v46, v48
	v_fma_f32 v46, v16, s2, -v46
	v_fmac_f32_e32 v46, 0xb2a5705f, v16
	v_add_f32_e32 v46, v49, v46
	v_exp_f32_e32 v46, v46
	v_cvt_i32_f32_e32 v48, v48
	s_mov_b32 s2, 0x42ce8ed0
	v_cmp_nlt_f32_e32 vcc, s2, v16
	s_mov_b32 s2, 0xc2b17218
	v_ldexp_f32 v46, v46, v48
	v_cndmask_b32_e32 v46, 0, v46, vcc
	v_mov_b32_e32 v48, 0x7f800000
	v_cmp_ngt_f32_e32 vcc, s2, v16
	v_cndmask_b32_e32 v16, v48, v46, vcc
	v_add_f32_e32 v16, 1.0, v16
	v_div_scale_f32 v46, s[2:3], v16, v16, 1.0
	v_rcp_f32_e32 v48, v46
	v_fma_f32 v49, -v46, v48, 1.0
	v_fmac_f32_e32 v48, v49, v48
	v_div_scale_f32 v49, vcc, 1.0, v16, 1.0
	v_mul_f32_e32 v50, v49, v48
	v_fma_f32 v51, -v46, v50, v49
	v_fmac_f32_e32 v50, v51, v48
	v_fma_f32 v46, -v46, v50, v49
	v_div_fmas_f32 v46, v46, v48, v50
	v_div_fixup_f32 v46, v46, v16, 1.0
.LBB10_53:
	s_or_b64 exec, exec, s[0:1]
	v_lshlrev_b32_e32 v16, 16, v17
	v_cmp_o_f32_e32 vcc, v16, v16
	s_and_saveexec_b64 s[0:1], vcc
	s_cbranch_execz .LBB10_55
; %bb.54:
	v_mul_f32_e32 v47, 0xbfb8aa3b, v16
	s_mov_b32 s2, 0xbfb8aa3b
	v_rndne_f32_e32 v48, v47
	v_sub_f32_e32 v49, v47, v48
	v_fma_f32 v47, v16, s2, -v47
	v_fmac_f32_e32 v47, 0xb2a5705f, v16
	v_add_f32_e32 v47, v49, v47
	v_exp_f32_e32 v47, v47
	v_cvt_i32_f32_e32 v48, v48
	s_mov_b32 s2, 0x42ce8ed0
	v_cmp_nlt_f32_e32 vcc, s2, v16
	s_mov_b32 s2, 0xc2b17218
	v_ldexp_f32 v47, v47, v48
	v_cndmask_b32_e32 v47, 0, v47, vcc
	v_mov_b32_e32 v48, 0x7f800000
	v_cmp_ngt_f32_e32 vcc, s2, v16
	v_cndmask_b32_e32 v16, v48, v47, vcc
	v_add_f32_e32 v16, 1.0, v16
	v_div_scale_f32 v47, s[2:3], v16, v16, 1.0
	v_rcp_f32_e32 v48, v47
	v_fma_f32 v49, -v47, v48, 1.0
	v_fmac_f32_e32 v48, v49, v48
	v_div_scale_f32 v49, vcc, 1.0, v16, 1.0
	v_mul_f32_e32 v50, v49, v48
	v_fma_f32 v51, -v47, v50, v49
	v_fmac_f32_e32 v50, v51, v48
	v_fma_f32 v47, -v47, v50, v49
	v_div_fmas_f32 v47, v47, v48, v50
	v_div_fixup_f32 v47, v47, v16, 1.0
.LBB10_55:
	s_or_b64 exec, exec, s[0:1]
	v_and_b32_e32 v48, 0xffff0000, v17
	v_cmp_o_f32_e32 vcc, v48, v48
	v_mov_b32_e32 v17, 0
	v_mov_b32_e32 v16, 0
	s_and_saveexec_b64 s[0:1], vcc
	s_cbranch_execz .LBB10_57
; %bb.56:
	v_mul_f32_e32 v16, 0xbfb8aa3b, v48
	s_mov_b32 s2, 0xbfb8aa3b
	v_rndne_f32_e32 v49, v16
	v_sub_f32_e32 v50, v16, v49
	v_fma_f32 v16, v48, s2, -v16
	v_fmac_f32_e32 v16, 0xb2a5705f, v48
	v_add_f32_e32 v16, v50, v16
	v_exp_f32_e32 v16, v16
	v_cvt_i32_f32_e32 v49, v49
	s_mov_b32 s2, 0x42ce8ed0
	v_cmp_nlt_f32_e32 vcc, s2, v48
	s_mov_b32 s2, 0xc2b17218
	v_ldexp_f32 v16, v16, v49
	v_cndmask_b32_e32 v16, 0, v16, vcc
	v_mov_b32_e32 v49, 0x7f800000
	v_cmp_ngt_f32_e32 vcc, s2, v48
	v_cndmask_b32_e32 v16, v49, v16, vcc
	v_add_f32_e32 v16, 1.0, v16
	v_div_scale_f32 v48, s[2:3], v16, v16, 1.0
	v_rcp_f32_e32 v49, v48
	v_fma_f32 v50, -v48, v49, 1.0
	v_fmac_f32_e32 v49, v50, v49
	v_div_scale_f32 v50, vcc, 1.0, v16, 1.0
	v_mul_f32_e32 v51, v50, v49
	v_fma_f32 v52, -v48, v51, v50
	v_fmac_f32_e32 v51, v52, v49
	v_fma_f32 v48, -v48, v51, v50
	v_div_fmas_f32 v48, v48, v49, v51
	v_div_fixup_f32 v16, v48, v16, 1.0
.LBB10_57:
	s_or_b64 exec, exec, s[0:1]
	v_lshlrev_b32_e32 v48, 16, v18
	v_cmp_o_f32_e32 vcc, v48, v48
	s_and_saveexec_b64 s[0:1], vcc
	s_cbranch_execz .LBB10_59
; %bb.58:
	v_mul_f32_e32 v17, 0xbfb8aa3b, v48
	s_mov_b32 s2, 0xbfb8aa3b
	v_rndne_f32_e32 v49, v17
	v_sub_f32_e32 v50, v17, v49
	v_fma_f32 v17, v48, s2, -v17
	v_fmac_f32_e32 v17, 0xb2a5705f, v48
	v_add_f32_e32 v17, v50, v17
	v_exp_f32_e32 v17, v17
	v_cvt_i32_f32_e32 v49, v49
	s_mov_b32 s2, 0x42ce8ed0
	v_cmp_nlt_f32_e32 vcc, s2, v48
	s_mov_b32 s2, 0xc2b17218
	v_ldexp_f32 v17, v17, v49
	v_cndmask_b32_e32 v17, 0, v17, vcc
	v_mov_b32_e32 v49, 0x7f800000
	v_cmp_ngt_f32_e32 vcc, s2, v48
	v_cndmask_b32_e32 v17, v49, v17, vcc
	v_add_f32_e32 v17, 1.0, v17
	v_div_scale_f32 v48, s[2:3], v17, v17, 1.0
	v_rcp_f32_e32 v49, v48
	v_fma_f32 v50, -v48, v49, 1.0
	v_fmac_f32_e32 v49, v50, v49
	v_div_scale_f32 v50, vcc, 1.0, v17, 1.0
	v_mul_f32_e32 v51, v50, v49
	v_fma_f32 v52, -v48, v51, v50
	v_fmac_f32_e32 v51, v52, v49
	v_fma_f32 v48, -v48, v51, v50
	v_div_fmas_f32 v48, v48, v49, v51
	v_div_fixup_f32 v17, v48, v17, 1.0
.LBB10_59:
	s_or_b64 exec, exec, s[0:1]
	v_and_b32_e32 v18, 0xffff0000, v18
	v_cmp_o_f32_e32 vcc, v18, v18
	v_mov_b32_e32 v49, 0
	v_mov_b32_e32 v48, 0
	s_and_saveexec_b64 s[0:1], vcc
	s_cbranch_execz .LBB10_61
; %bb.60:
	v_mul_f32_e32 v48, 0xbfb8aa3b, v18
	s_mov_b32 s2, 0xbfb8aa3b
	v_rndne_f32_e32 v50, v48
	v_sub_f32_e32 v51, v48, v50
	v_fma_f32 v48, v18, s2, -v48
	v_fmac_f32_e32 v48, 0xb2a5705f, v18
	v_add_f32_e32 v48, v51, v48
	v_exp_f32_e32 v48, v48
	v_cvt_i32_f32_e32 v50, v50
	s_mov_b32 s2, 0x42ce8ed0
	v_cmp_nlt_f32_e32 vcc, s2, v18
	s_mov_b32 s2, 0xc2b17218
	v_ldexp_f32 v48, v48, v50
	v_cndmask_b32_e32 v48, 0, v48, vcc
	v_mov_b32_e32 v50, 0x7f800000
	v_cmp_ngt_f32_e32 vcc, s2, v18
	v_cndmask_b32_e32 v18, v50, v48, vcc
	v_add_f32_e32 v18, 1.0, v18
	v_div_scale_f32 v48, s[2:3], v18, v18, 1.0
	v_rcp_f32_e32 v50, v48
	v_fma_f32 v51, -v48, v50, 1.0
	v_fmac_f32_e32 v50, v51, v50
	v_div_scale_f32 v51, vcc, 1.0, v18, 1.0
	v_mul_f32_e32 v52, v51, v50
	v_fma_f32 v53, -v48, v52, v51
	v_fmac_f32_e32 v52, v53, v50
	v_fma_f32 v48, -v48, v52, v51
	v_div_fmas_f32 v48, v48, v50, v52
	v_div_fixup_f32 v48, v48, v18, 1.0
.LBB10_61:
	s_or_b64 exec, exec, s[0:1]
	v_lshlrev_b32_e32 v18, 16, v19
	v_cmp_o_f32_e32 vcc, v18, v18
	s_and_saveexec_b64 s[0:1], vcc
	s_cbranch_execz .LBB10_63
; %bb.62:
	v_mul_f32_e32 v49, 0xbfb8aa3b, v18
	s_mov_b32 s2, 0xbfb8aa3b
	v_rndne_f32_e32 v50, v49
	v_sub_f32_e32 v51, v49, v50
	v_fma_f32 v49, v18, s2, -v49
	v_fmac_f32_e32 v49, 0xb2a5705f, v18
	v_add_f32_e32 v49, v51, v49
	v_exp_f32_e32 v49, v49
	v_cvt_i32_f32_e32 v50, v50
	s_mov_b32 s2, 0x42ce8ed0
	v_cmp_nlt_f32_e32 vcc, s2, v18
	s_mov_b32 s2, 0xc2b17218
	v_ldexp_f32 v49, v49, v50
	v_cndmask_b32_e32 v49, 0, v49, vcc
	v_mov_b32_e32 v50, 0x7f800000
	v_cmp_ngt_f32_e32 vcc, s2, v18
	v_cndmask_b32_e32 v18, v50, v49, vcc
	v_add_f32_e32 v18, 1.0, v18
	v_div_scale_f32 v49, s[2:3], v18, v18, 1.0
	v_rcp_f32_e32 v50, v49
	v_fma_f32 v51, -v49, v50, 1.0
	v_fmac_f32_e32 v50, v51, v50
	v_div_scale_f32 v51, vcc, 1.0, v18, 1.0
	v_mul_f32_e32 v52, v51, v50
	v_fma_f32 v53, -v49, v52, v51
	v_fmac_f32_e32 v52, v53, v50
	v_fma_f32 v49, -v49, v52, v51
	v_div_fmas_f32 v49, v49, v50, v52
	v_div_fixup_f32 v49, v49, v18, 1.0
.LBB10_63:
	s_or_b64 exec, exec, s[0:1]
	v_and_b32_e32 v18, 0xffff0000, v19
	v_cmp_o_f32_e32 vcc, v18, v18
	v_mov_b32_e32 v70, 0
	s_and_saveexec_b64 s[0:1], vcc
	s_cbranch_execz .LBB10_65
; %bb.64:
	v_mul_f32_e32 v19, 0xbfb8aa3b, v18
	s_mov_b32 s2, 0xbfb8aa3b
	v_rndne_f32_e32 v50, v19
	v_sub_f32_e32 v51, v19, v50
	v_fma_f32 v19, v18, s2, -v19
	v_fmac_f32_e32 v19, 0xb2a5705f, v18
	v_add_f32_e32 v19, v51, v19
	v_exp_f32_e32 v19, v19
	v_cvt_i32_f32_e32 v50, v50
	s_mov_b32 s2, 0x42ce8ed0
	v_cmp_nlt_f32_e32 vcc, s2, v18
	s_mov_b32 s2, 0xc2b17218
	v_ldexp_f32 v19, v19, v50
	v_cndmask_b32_e32 v19, 0, v19, vcc
	v_mov_b32_e32 v50, 0x7f800000
	v_cmp_ngt_f32_e32 vcc, s2, v18
	v_cndmask_b32_e32 v18, v50, v19, vcc
	v_add_f32_e32 v18, 1.0, v18
	v_div_scale_f32 v19, s[2:3], v18, v18, 1.0
	v_rcp_f32_e32 v50, v19
	v_fma_f32 v51, -v19, v50, 1.0
	v_fmac_f32_e32 v50, v51, v50
	v_div_scale_f32 v51, vcc, 1.0, v18, 1.0
	v_mul_f32_e32 v52, v51, v50
	v_fma_f32 v53, -v19, v52, v51
	v_fmac_f32_e32 v52, v53, v50
	v_fma_f32 v19, -v19, v52, v51
	v_div_fmas_f32 v19, v19, v50, v52
	v_div_fixup_f32 v70, v19, v18, 1.0
.LBB10_65:
	s_or_b64 exec, exec, s[0:1]
	s_waitcnt vmcnt(0)
	v_lshlrev_b32_e32 v50, 16, v12
	v_and_b32_e32 v18, 0xffff0000, v12
	v_lshlrev_b32_e32 v19, 16, v13
	v_add_f32_e32 v71, v69, v50
	v_pk_add_f32 v[18:19], v[34:35], v[18:19]
	v_max_f32_e32 v50, 0xff7fffff, v71
	s_mov_b32 s2, 0xff7fffff
	v_cmp_ngt_f32_e32 vcc, v18, v50
	v_mov_b32_e32 v12, v50
	v_mov_b32_e32 v52, v18
	s_and_saveexec_b64 s[0:1], vcc
	s_cbranch_execz .LBB10_69
; %bb.66:
	v_cmp_lt_f32_e32 vcc, s2, v18
	v_mov_b32_e32 v12, 0xff7fffff
	s_and_saveexec_b64 s[2:3], vcc
; %bb.67:
	v_mov_b32_e32 v12, v18
; %bb.68:
	s_or_b64 exec, exec, s[2:3]
	v_mov_b32_e32 v52, v50
.LBB10_69:
	s_or_b64 exec, exec, s[0:1]
	v_cmp_ngt_f32_e32 vcc, v19, v52
	v_mov_b32_e32 v51, v52
	v_mov_b32_e32 v50, v19
	s_and_saveexec_b64 s[0:1], vcc
	s_cbranch_execz .LBB10_73
; %bb.70:
	v_cmp_gt_f32_e32 vcc, v19, v12
	s_and_saveexec_b64 s[2:3], vcc
; %bb.71:
	v_mov_b32_e32 v12, v19
; %bb.72:
	s_or_b64 exec, exec, s[2:3]
	v_mov_b32_e32 v51, v12
	v_mov_b32_e32 v50, v52
.LBB10_73:
	s_or_b64 exec, exec, s[0:1]
	v_and_b32_e32 v12, 0xffff0000, v13
	v_lshlrev_b32_e32 v13, 16, v14
	v_pk_add_f32 v[12:13], v[28:29], v[12:13]
	v_cmp_ngt_f32_e32 vcc, v12, v50
	v_mov_b32_e32 v55, v50
	v_mov_b32_e32 v54, v12
	s_and_saveexec_b64 s[0:1], vcc
	s_cbranch_execz .LBB10_77
; %bb.74:
	v_cmp_gt_f32_e32 vcc, v12, v51
	s_and_saveexec_b64 s[2:3], vcc
; %bb.75:
	v_mov_b32_e32 v51, v12
; %bb.76:
	s_or_b64 exec, exec, s[2:3]
	v_mov_b32_e32 v55, v51
	v_mov_b32_e32 v54, v50
.LBB10_77:
	s_or_b64 exec, exec, s[0:1]
	v_cmp_ngt_f32_e32 vcc, v13, v54
	v_mov_b32_e32 v53, v54
	v_mov_b32_e32 v52, v13
	s_and_saveexec_b64 s[0:1], vcc
	s_cbranch_execz .LBB10_81
; %bb.78:
	v_cmp_gt_f32_e32 vcc, v13, v55
	s_and_saveexec_b64 s[2:3], vcc
; %bb.79:
	v_mov_b32_e32 v55, v13
; %bb.80:
	s_or_b64 exec, exec, s[2:3]
	v_mov_b32_e32 v53, v55
	v_mov_b32_e32 v52, v54
.LBB10_81:
	s_or_b64 exec, exec, s[0:1]
	v_and_b32_e32 v50, 0xffff0000, v14
	v_lshlrev_b32_e32 v51, 16, v15
	v_pk_add_f32 v[50:51], v[36:37], v[50:51]
	v_cmp_ngt_f32_e32 vcc, v50, v52
	v_mov_b32_e32 v54, v52
	v_mov_b32_e32 v14, v50
	s_and_saveexec_b64 s[0:1], vcc
	s_cbranch_execz .LBB10_85
; %bb.82:
	v_cmp_gt_f32_e32 vcc, v50, v53
	s_and_saveexec_b64 s[2:3], vcc
; %bb.83:
	v_mov_b32_e32 v53, v50
; %bb.84:
	s_or_b64 exec, exec, s[2:3]
	v_mov_b32_e32 v54, v53
	v_mov_b32_e32 v14, v52
.LBB10_85:
	;; [unrolled: 35-line block ×14, first 2 shown]
	s_or_b64 exec, exec, s[0:1]
	v_cmp_ngt_f32_e32 vcc, v65, v67
	v_mov_b32_e32 v6, v67
	v_mov_b32_e32 v2, v65
	s_and_saveexec_b64 s[0:1], vcc
	s_cbranch_execz .LBB10_185
; %bb.182:
	v_cmp_gt_f32_e32 vcc, v65, v72
	s_and_saveexec_b64 s[2:3], vcc
; %bb.183:
	v_mov_b32_e32 v72, v65
; %bb.184:
	s_or_b64 exec, exec, s[2:3]
	v_mov_b32_e32 v6, v72
	v_mov_b32_e32 v2, v67
.LBB10_185:
	s_or_b64 exec, exec, s[0:1]
	v_and_b32_e32 v3, 0xffff0000, v3
	v_add_f32_e32 v73, v70, v3
	v_cmp_ngt_f32_e32 vcc, v73, v2
	v_mov_b32_e32 v3, v2
	v_mov_b32_e32 v7, v73
	s_and_saveexec_b64 s[0:1], vcc
	s_cbranch_execz .LBB10_189
; %bb.186:
	v_cmp_gt_f32_e32 vcc, v73, v6
	s_and_saveexec_b64 s[2:3], vcc
; %bb.187:
	v_mov_b32_e32 v6, v73
; %bb.188:
	s_or_b64 exec, exec, s[2:3]
	v_mov_b32_e32 v3, v6
	v_mov_b32_e32 v7, v2
.LBB10_189:
	s_or_b64 exec, exec, s[0:1]
	v_cmp_lt_i64_e64 s[0:1], s[74:75], 4
	v_lshlrev_b32_e32 v74, 5, v68
	s_and_b64 vcc, exec, s[0:1]
	s_cbranch_vccz .LBB10_192
; %bb.190:
	s_sub_u32 s6, 4, s74
	s_subb_u32 s7, 0, s75
	v_add_f32_e32 v2, v3, v7
	s_mov_b64 s[8:9], 0
	v_mov_b32_e32 v3, 0x7f7fffff
.LBB10_191:                             ; =>This Inner Loop Header: Depth=1
	v_mov_b32_dpp v6, v74 quad_perm:[1,0,3,2] row_mask:0xf bank_mask:0xf
	v_mov_b32_dpp v7, v2 quad_perm:[1,0,3,2] row_mask:0xf bank_mask:0xf
	v_cmp_eq_f32_e64 s[0:1], v2, v7
	v_cmp_lt_i32_e64 s[2:3], v74, v6
	v_cmp_lt_f32_e32 vcc, v2, v7
	s_and_b64 s[0:1], s[2:3], s[0:1]
	s_or_b64 vcc, vcc, s[0:1]
	v_cndmask_b32_e32 v7, v7, v2, vcc
	v_cndmask_b32_e32 v6, v6, v74, vcc
	s_add_u32 s8, s8, 1
	v_mov_b32_dpp v72, v7 quad_perm:[2,3,0,1] row_mask:0xf bank_mask:0xf
	v_mov_b32_dpp v67, v6 quad_perm:[2,3,0,1] row_mask:0xf bank_mask:0xf
	v_min_i32_e32 v75, v6, v67
	v_cmp_eq_f32_e32 vcc, v7, v72
	v_cndmask_b32_e32 v67, v67, v75, vcc
	v_cmp_lt_f32_e32 vcc, v7, v72
	v_cndmask_b32_e32 v6, v67, v6, vcc
	v_ashrrev_i32_e32 v7, 31, v6
	v_lshrrev_b32_e32 v7, 27, v7
	v_add_u32_e32 v6, v6, v7
	v_ashrrev_i32_e32 v6, 5, v6
	s_addc_u32 s9, s9, 0
	v_cmp_eq_u32_e32 vcc, v68, v6
	v_pk_mov_b32 v[6:7], s[8:9], s[8:9] op_sel:[0,1]
	v_cndmask_b32_e32 v71, v71, v3, vcc
	v_cndmask_b32_e32 v2, v2, v3, vcc
	v_cmp_le_i64_e32 vcc, s[6:7], v[6:7]
	s_cbranch_vccz .LBB10_191
.LBB10_192:
	s_sub_u32 s72, s76, s78
	s_subb_u32 s73, s77, s79
	s_mov_b64 s[0:1], src_shared_base
	s_cmp_lg_u32 0, -1
	s_cselect_b32 s0, s1, 0
	s_cselect_b32 s1, 0, 0
	s_add_u32 s1, s1, 0xff
	s_addc_u32 s0, s0, 0
	s_and_b32 s1, s1, 0xffffff00
	v_mov_b32_e32 v2, s1
	v_mov_b32_e32 v3, s0
	v_and_b32_e32 v66, 0x3fc, v66
	v_mad_u64_u32 v[6:7], s[0:1], v66, s76, v[2:3]
	s_load_dword s33, s[4:5], 0x48
	v_mov_b32_e32 v2, v7
	v_mad_u64_u32 v[2:3], s[0:1], v66, s77, v[2:3]
	v_cmp_lt_i64_e64 s[0:1], s[72:73], 1
	v_mov_b32_e32 v7, v2
	s_and_b64 vcc, exec, s[0:1]
	v_cmp_eq_u32_e64 s[0:1], 0, v68
	s_cbranch_vccnz .LBB10_203
; %bb.193:
	s_waitcnt lgkmcnt(0)
	v_mad_u64_u32 v[2:3], s[2:3], s33, v32, 0
	s_ashr_i32 s6, s33, 31
	v_mov_b32_e32 v66, v3
	v_mad_u64_u32 v[66:67], s[2:3], s6, v32, v[66:67]
	v_mov_b32_e32 v3, v66
	v_lshlrev_b64 v[2:3], 2, v[2:3]
	v_mov_b32_e32 v66, s71
	v_add_co_u32_e32 v2, vcc, s70, v2
	v_addc_co_u32_e32 v3, vcc, v66, v3, vcc
	v_mul_u32_u24_e32 v75, 32, v68
	s_mov_b64 s[74:75], 0
	v_mov_b32_e32 v72, 0
	s_mov_b32 s84, 0x7f7fffff
	v_mov_b32_e32 v76, 0xff7fffff
	v_pk_mov_b32 v[66:67], v[6:7], v[6:7] op_sel:[0,1]
	s_branch .LBB10_195
.LBB10_194:                             ;   in Loop: Header=BB10_195 Depth=1
	s_or_b64 exec, exec, s[2:3]
	v_add_co_u32_e32 v2, vcc, 4, v2
	s_add_u32 s74, s74, 1
	v_addc_co_u32_e32 v3, vcc, 0, v3, vcc
	s_addc_u32 s75, s75, 0
	v_add_co_u32_e32 v66, vcc, 4, v66
	v_addc_co_u32_e32 v67, vcc, 0, v67, vcc
	v_pk_mov_b32 v[78:79], s[74:75], s[74:75] op_sel:[0,1]
	v_cmp_le_i64_e32 vcc, s[72:73], v[78:79]
	s_cbranch_vccnz .LBB10_204
.LBB10_195:                             ; =>This Inner Loop Header: Depth=1
	v_cmp_neq_f32_e32 vcc, s84, v71
	v_mov_b32_e32 v77, 0xff7fffff
	v_mov_b32_e32 v78, v74
	s_and_saveexec_b64 s[2:3], vcc
	s_cbranch_execz .LBB10_197
; %bb.196:                              ;   in Loop: Header=BB10_195 Depth=1
	v_cmp_gt_f32_e32 vcc, v18, v71
	v_cndmask_b32_e32 v77, v71, v18, vcc
	v_cndmask_b32_e64 v78, 0, 1, vcc
	v_cmp_gt_f32_e32 vcc, v19, v77
	v_cndmask_b32_e32 v77, v77, v19, vcc
	v_cndmask_b32_e64 v78, v78, 2, vcc
	v_cmp_gt_f32_e32 vcc, v12, v77
	v_cndmask_b32_e32 v77, v77, v12, vcc
	v_cndmask_b32_e64 v78, v78, 3, vcc
	v_cmp_gt_f32_e32 vcc, v13, v77
	v_cndmask_b32_e32 v77, v77, v13, vcc
	v_cndmask_b32_e64 v78, v78, 4, vcc
	v_cmp_gt_f32_e32 vcc, v50, v77
	v_cndmask_b32_e32 v77, v77, v50, vcc
	v_cndmask_b32_e64 v78, v78, 5, vcc
	v_cmp_gt_f32_e32 vcc, v51, v77
	v_cndmask_b32_e32 v77, v77, v51, vcc
	v_cndmask_b32_e64 v78, v78, 6, vcc
	v_cmp_gt_f32_e32 vcc, v14, v77
	v_cndmask_b32_e32 v77, v77, v14, vcc
	v_cndmask_b32_e64 v78, v78, 7, vcc
	v_cmp_gt_f32_e32 vcc, v15, v77
	v_cndmask_b32_e32 v77, v77, v15, vcc
	v_cndmask_b32_e64 v78, v78, 8, vcc
	v_cmp_gt_f32_e32 vcc, v52, v77
	v_cndmask_b32_e32 v77, v77, v52, vcc
	v_cndmask_b32_e64 v78, v78, 9, vcc
	v_cmp_gt_f32_e32 vcc, v53, v77
	v_cndmask_b32_e32 v77, v77, v53, vcc
	v_cndmask_b32_e64 v78, v78, 10, vcc
	v_cmp_gt_f32_e32 vcc, v8, v77
	v_cndmask_b32_e32 v77, v77, v8, vcc
	v_cndmask_b32_e64 v78, v78, 11, vcc
	v_cmp_gt_f32_e32 vcc, v9, v77
	v_cndmask_b32_e32 v77, v77, v9, vcc
	v_cndmask_b32_e64 v78, v78, 12, vcc
	v_cmp_gt_f32_e32 vcc, v54, v77
	v_cndmask_b32_e32 v77, v77, v54, vcc
	v_cndmask_b32_e64 v78, v78, 13, vcc
	v_cmp_gt_f32_e32 vcc, v55, v77
	v_cndmask_b32_e32 v77, v77, v55, vcc
	v_cndmask_b32_e64 v78, v78, 14, vcc
	v_cmp_gt_f32_e32 vcc, v10, v77
	v_cndmask_b32_e32 v77, v77, v10, vcc
	v_cndmask_b32_e64 v78, v78, 15, vcc
	v_cmp_gt_f32_e32 vcc, v11, v77
	v_cndmask_b32_e32 v77, v77, v11, vcc
	v_cndmask_b32_e64 v78, v78, 16, vcc
	v_cmp_gt_f32_e32 vcc, v56, v77
	v_cndmask_b32_e32 v77, v77, v56, vcc
	v_cndmask_b32_e64 v78, v78, 17, vcc
	v_cmp_gt_f32_e32 vcc, v57, v77
	v_cndmask_b32_e32 v77, v77, v57, vcc
	v_cndmask_b32_e64 v78, v78, 18, vcc
	v_cmp_gt_f32_e32 vcc, v4, v77
	v_cndmask_b32_e32 v77, v77, v4, vcc
	v_cndmask_b32_e64 v78, v78, 19, vcc
	v_cmp_gt_f32_e32 vcc, v5, v77
	v_cndmask_b32_e32 v77, v77, v5, vcc
	v_cndmask_b32_e64 v78, v78, 20, vcc
	v_cmp_gt_f32_e32 vcc, v58, v77
	v_cndmask_b32_e32 v77, v77, v58, vcc
	v_cndmask_b32_e64 v78, v78, 21, vcc
	v_cmp_gt_f32_e32 vcc, v59, v77
	v_cndmask_b32_e32 v77, v77, v59, vcc
	v_cndmask_b32_e64 v78, v78, 22, vcc
	v_cmp_gt_f32_e32 vcc, v60, v77
	v_cndmask_b32_e32 v77, v77, v60, vcc
	v_cndmask_b32_e64 v78, v78, 23, vcc
	v_cmp_gt_f32_e32 vcc, v61, v77
	v_cndmask_b32_e32 v77, v77, v61, vcc
	v_cndmask_b32_e64 v78, v78, 24, vcc
	v_cmp_gt_f32_e32 vcc, v62, v77
	v_cndmask_b32_e32 v77, v77, v62, vcc
	v_cndmask_b32_e64 v78, v78, 25, vcc
	v_cmp_gt_f32_e32 vcc, v63, v77
	v_cndmask_b32_e32 v77, v77, v63, vcc
	v_cndmask_b32_e64 v78, v78, 26, vcc
	v_cmp_gt_f32_e32 vcc, v0, v77
	v_cndmask_b32_e32 v77, v77, v0, vcc
	v_cndmask_b32_e64 v78, v78, 27, vcc
	v_cmp_gt_f32_e32 vcc, v1, v77
	v_cndmask_b32_e32 v77, v77, v1, vcc
	v_cndmask_b32_e64 v78, v78, 28, vcc
	v_cmp_gt_f32_e32 vcc, v64, v77
	v_cndmask_b32_e32 v77, v77, v64, vcc
	v_cndmask_b32_e64 v78, v78, 29, vcc
	v_cmp_gt_f32_e32 vcc, v65, v77
	v_cndmask_b32_e32 v77, v77, v65, vcc
	v_cndmask_b32_e64 v78, v78, 30, vcc
	v_cmp_gt_f32_e32 vcc, v73, v77
	v_cndmask_b32_e64 v78, v78, 31, vcc
	v_cndmask_b32_e32 v77, v77, v73, vcc
	v_or_b32_e32 v78, v78, v74
.LBB10_197:                             ;   in Loop: Header=BB10_195 Depth=1
	s_or_b64 exec, exec, s[2:3]
	s_nop 0
	v_mov_b32_dpp v79, v78 quad_perm:[1,0,3,2] row_mask:0xf bank_mask:0xf
	v_mov_b32_dpp v80, v77 quad_perm:[1,0,3,2] row_mask:0xf bank_mask:0xf
	v_cmp_eq_f32_e64 s[2:3], v77, v80
	v_cmp_lt_i32_e64 s[6:7], v78, v79
	v_cmp_gt_f32_e32 vcc, v77, v80
	s_and_b64 s[2:3], s[2:3], s[6:7]
	s_or_b64 vcc, vcc, s[2:3]
	v_cndmask_b32_e32 v77, v80, v77, vcc
	v_cndmask_b32_e32 v78, v79, v78, vcc
	s_nop 0
	v_mov_b32_dpp v80, v77 quad_perm:[2,3,0,1] row_mask:0xf bank_mask:0xf
	v_mov_b32_dpp v79, v78 quad_perm:[2,3,0,1] row_mask:0xf bank_mask:0xf
	v_min_i32_e32 v81, v78, v79
	v_cmp_eq_f32_e32 vcc, v77, v80
	v_cndmask_b32_e32 v79, v79, v81, vcc
	v_cmp_gt_f32_e32 vcc, v77, v80
	v_cndmask_b32_e32 v77, v79, v78, vcc
	v_ashrrev_i32_e32 v78, 31, v77
	v_lshrrev_b32_e32 v78, 27, v78
	v_add_u32_e32 v78, v77, v78
	v_ashrrev_i32_e32 v78, 5, v78
	v_cmp_eq_u32_e32 vcc, v68, v78
	s_and_saveexec_b64 s[80:81], vcc
	s_cbranch_execz .LBB10_201
; %bb.198:                              ;   in Loop: Header=BB10_195 Depth=1
	v_sub_u32_e32 v78, v77, v75
	v_cmp_eq_u32_e64 s[62:63], 2, v78
	v_cmp_eq_u32_e64 s[64:65], 1, v78
	;; [unrolled: 1-line block ×30, first 2 shown]
	v_cmp_eq_u32_e32 vcc, 31, v78
	v_cmp_gt_u32_e64 s[66:67], 32, v78
	s_and_saveexec_b64 s[82:83], s[66:67]
	s_cbranch_execz .LBB10_200
; %bb.199:                              ;   in Loop: Header=BB10_195 Depth=1
	v_cndmask_b32_e64 v79, v69, v34, s[64:65]
	v_cndmask_b32_e64 v79, v79, v35, s[62:63]
	;; [unrolled: 1-line block ×30, first 2 shown]
	v_cndmask_b32_e32 v79, v79, v70, vcc
	flat_store_dword v[66:67], v79
.LBB10_200:                             ;   in Loop: Header=BB10_195 Depth=1
	s_or_b64 exec, exec, s[82:83]
	v_cmp_ne_u32_e64 s[66:67], 0, v78
	v_cndmask_b32_e64 v71, v76, v71, s[66:67]
	v_cndmask_b32_e64 v19, v19, v76, s[62:63]
	;; [unrolled: 1-line block ×31, first 2 shown]
	v_cndmask_b32_e32 v73, v73, v76, vcc
	global_store_dword v[2:3], v77, off
.LBB10_201:                             ;   in Loop: Header=BB10_195 Depth=1
	s_or_b64 exec, exec, s[80:81]
	s_waitcnt lgkmcnt(0)
	s_barrier
	s_and_saveexec_b64 s[2:3], s[0:1]
	s_cbranch_execz .LBB10_194
; %bb.202:                              ;   in Loop: Header=BB10_195 Depth=1
	flat_load_dword v77, v[66:67]
	s_waitcnt vmcnt(0) lgkmcnt(0)
	v_add_f32_e32 v72, v72, v77
	s_branch .LBB10_194
.LBB10_203:
	v_mov_b32_e32 v72, 0
.LBB10_204:
	v_cmp_eq_u32_e64 s[0:1], 0, v68
	v_cmp_gt_i64_e64 s[2:3], s[78:79], 0
	s_and_b64 s[6:7], s[0:1], s[2:3]
	s_and_saveexec_b64 s[2:3], s[6:7]
	s_cbranch_execz .LBB10_217
; %bb.205:
	v_cmp_le_u64_e32 vcc, s[78:79], v[32:33]
	v_pk_mov_b32 v[0:1], v[32:33], v[32:33] op_sel:[0,1]
	s_and_saveexec_b64 s[6:7], vcc
	s_cbranch_execz .LBB10_207
; %bb.206:
	v_cvt_f32_u32_e32 v0, s78
	s_sub_i32 s8, 0, s78
	v_rcp_iflag_f32_e32 v0, v0
	v_mul_f32_e32 v0, 0x4f7ffffe, v0
	v_cvt_u32_f32_e32 v0, v0
	v_mul_lo_u32 v1, s8, v0
	v_mul_hi_u32 v1, v0, v1
	v_add_u32_e32 v0, v0, v1
	v_mul_hi_u32 v0, v32, v0
	v_mul_lo_u32 v0, v0, s78
	v_sub_u32_e32 v0, v32, v0
	v_subrev_u32_e32 v1, s78, v0
	v_cmp_le_u32_e32 vcc, s78, v0
	v_cndmask_b32_e32 v0, v0, v1, vcc
	v_subrev_u32_e32 v1, s78, v0
	v_cmp_le_u32_e32 vcc, s78, v0
	v_cndmask_b32_e32 v0, v0, v1, vcc
	v_mov_b32_e32 v1, 0
.LBB10_207:
	s_or_b64 exec, exec, s[6:7]
	s_load_dwordx2 s[4:5], s[4:5], 0x40
	v_pk_mov_b32 v[2:3], s[72:73], s[72:73] op_sel:[0,1]
	s_waitcnt lgkmcnt(0)
	v_mad_u64_u32 v[10:11], s[6:7], s33, v32, v[2:3]
	s_ashr_i32 s8, s33, 31
	v_mov_b32_e32 v2, v11
	v_cvt_f64_f32_e32 v[8:9], v72
	v_mad_u64_u32 v[2:3], s[6:7], s8, v32, v[2:3]
	v_div_scale_f64 v[12:13], s[6:7], s[4:5], s[4:5], v[8:9]
	v_mov_b32_e32 v11, v2
	v_rcp_f64_e32 v[14:15], v[12:13]
	v_lshlrev_b64 v[2:3], 2, v[10:11]
	v_mov_b32_e32 v5, s71
	v_add_co_u32_e32 v4, vcc, s70, v2
	v_add_u32_e32 v16, 0x80, v0
	v_addc_co_u32_e32 v5, vcc, v5, v3, vcc
	global_store_dword v[4:5], v16, off
	v_fma_f64 v[16:17], -v[12:13], v[14:15], 1.0
	v_fmac_f64_e32 v[14:15], v[14:15], v[16:17]
	v_fma_f64 v[16:17], -v[12:13], v[14:15], 1.0
	v_fmac_f64_e32 v[14:15], v[14:15], v[16:17]
	v_div_scale_f64 v[16:17], vcc, v[8:9], s[4:5], v[8:9]
	v_mul_f64 v[18:19], v[16:17], v[14:15]
	v_fma_f64 v[12:13], -v[12:13], v[18:19], v[16:17]
	s_nop 1
	v_div_fmas_f64 v[12:13], v[12:13], v[14:15], v[18:19]
	v_div_fixup_f64 v[8:9], v[12:13], s[4:5], v[8:9]
	v_cvt_f32_f64_e32 v8, v[8:9]
	v_mov_b32_e32 v9, s69
	v_add_co_u32_e32 v14, vcc, s68, v2
	v_addc_co_u32_e32 v15, vcc, v9, v3, vcc
	v_cmp_lt_u64_e64 s[4:5], s[78:79], 2
	s_and_b64 vcc, exec, s[4:5]
	global_store_dword v[14:15], v8, off
	s_cbranch_vccnz .LBB10_217
; %bb.208:
	s_cmp_eq_u64 s[78:79], 2
	s_cbranch_scc1 .LBB10_213
; %bb.209:
	v_add_co_u32_e32 v2, vcc, 1, v0
	v_addc_co_u32_e32 v3, vcc, 0, v1, vcc
	s_add_u32 s4, s78, -1
	v_add_co_u32_e32 v12, vcc, 4, v4
	s_addc_u32 s5, s79, -1
	v_addc_co_u32_e32 v13, vcc, 0, v5, vcc
	s_and_b32 s6, s4, -2
	s_mov_b32 s7, s5
	v_add_co_u32_e32 v14, vcc, 4, v14
	v_pk_mov_b32 v[4:5], v[2:3], v[2:3] op_sel:[0,1]
	v_mov_b32_e32 v9, v8
	v_addc_co_u32_e32 v15, vcc, 0, v15, vcc
	s_mov_b64 s[8:9], s[6:7]
	v_pk_mov_b32 v[2:3], v[0:1], v[0:1] op_sel:[0,1]
.LBB10_210:                             ; =>This Inner Loop Header: Depth=1
	v_add_u32_e32 v17, 0x81, v4
	v_add_co_u32_e32 v4, vcc, 2, v4
	v_addc_co_u32_e32 v5, vcc, 0, v5, vcc
	v_add_u32_e32 v16, 0x81, v2
	v_add_co_u32_e32 v2, vcc, 2, v2
	v_addc_co_u32_e32 v3, vcc, 0, v3, vcc
	global_store_dwordx2 v[14:15], v[8:9], off
	v_add_co_u32_e32 v14, vcc, 8, v14
	v_addc_co_u32_e32 v15, vcc, 0, v15, vcc
	s_add_u32 s8, s8, -2
	global_store_dwordx2 v[12:13], v[16:17], off
	s_addc_u32 s9, s9, -1
	v_add_co_u32_e32 v12, vcc, 8, v12
	s_cmp_lg_u64 s[8:9], 0
	v_addc_co_u32_e32 v13, vcc, 0, v13, vcc
	s_cbranch_scc1 .LBB10_210
; %bb.211:
	s_cmp_eq_u64 s[4:5], s[6:7]
	s_cbranch_scc1 .LBB10_214
; %bb.212:
	v_mov_b32_e32 v1, s7
	v_add_co_u32_e32 v10, vcc, s6, v10
	s_or_b32 s4, s4, 1
	v_add_u32_e32 v0, s6, v0
	v_addc_co_u32_e32 v11, vcc, v11, v1, vcc
	s_cbranch_execnz .LBB10_215
	s_branch .LBB10_217
.LBB10_213:
	s_mov_b32 s4, 1
	s_cbranch_execnz .LBB10_215
	s_branch .LBB10_217
.LBB10_214:
	s_mov_b32 s4, 1
                                        ; implicit-def: $vgpr10_vgpr11
                                        ; implicit-def: $vgpr0
	s_branch .LBB10_217
.LBB10_215:
	v_add_u32_e32 v9, 0x81, v0
	v_lshlrev_b64 v[0:1], 2, v[10:11]
	v_add_co_u32_e32 v2, vcc, 4, v0
	v_addc_co_u32_e32 v3, vcc, 0, v1, vcc
	v_mov_b32_e32 v1, s69
	v_add_co_u32_e32 v0, vcc, s68, v2
	v_addc_co_u32_e32 v1, vcc, v1, v3, vcc
	v_mov_b32_e32 v4, s71
	v_add_co_u32_e32 v2, vcc, s70, v2
	s_mov_b32 s5, 0
	v_addc_co_u32_e32 v3, vcc, v4, v3, vcc
	v_pk_mov_b32 v[4:5], s[78:79], s[78:79] op_sel:[0,1]
.LBB10_216:                             ; =>This Inner Loop Header: Depth=1
	global_store_dword v[2:3], v9, off
	global_store_dword v[0:1], v8, off
	v_add_co_u32_e32 v0, vcc, 4, v0
	v_addc_co_u32_e32 v1, vcc, 0, v1, vcc
	s_add_u32 s4, s4, 1
	v_add_co_u32_e32 v2, vcc, 4, v2
	v_addc_co_u32_e32 v3, vcc, 0, v3, vcc
	s_addc_u32 s5, s5, 0
	v_cmp_lt_u64_e32 vcc, s[4:5], v[4:5]
	v_add_u32_e32 v9, 1, v9
	s_cbranch_vccnz .LBB10_216
.LBB10_217:
	s_or_b64 exec, exec, s[2:3]
	v_cmp_gt_i64_e64 s[4:5], s[76:77], 0
	s_mov_b64 s[2:3], 0
	s_and_b64 s[0:1], s[0:1], s[4:5]
	s_waitcnt lgkmcnt(0)
	s_barrier
	s_and_b64 exec, exec, s[0:1]
	s_cbranch_execz .LBB10_224
; %bb.218:
	v_mad_u64_u32 v[0:1], s[0:1], s33, v32, 0
	s_ashr_i32 s4, s33, 31
	v_mov_b32_e32 v2, v1
	v_mad_u64_u32 v[2:3], s[0:1], s4, v32, v[2:3]
	v_mov_b32_e32 v1, v2
	v_lshlrev_b64 v[0:1], 2, v[0:1]
	v_mov_b32_e32 v2, s69
	v_add_co_u32_e32 v4, vcc, s68, v0
	v_addc_co_u32_e32 v5, vcc, v2, v1, vcc
	v_cmp_lt_u64_e64 s[0:1], s[76:77], 8
	s_and_b64 vcc, exec, s[0:1]
	s_cbranch_vccnz .LBB10_221
; %bb.219:
	s_and_b32 s3, s77, 0x7fffffff
	s_and_b32 s2, s76, -8
	s_mov_b64 s[0:1], 0
	s_mov_b64 s[4:5], s[2:3]
.LBB10_220:                             ; =>This Inner Loop Header: Depth=1
	v_mov_b32_e32 v1, s1
	v_add_co_u32_e32 v2, vcc, s0, v6
	v_addc_co_u32_e32 v3, vcc, v7, v1, vcc
	flat_load_dword v8, v[2:3]
	v_add_co_u32_e32 v0, vcc, s0, v4
	v_addc_co_u32_e32 v1, vcc, v5, v1, vcc
	s_add_u32 s0, s0, 32
	s_addc_u32 s1, s1, 0
	s_add_u32 s4, s4, -8
	s_addc_u32 s5, s5, -1
	s_cmp_lg_u64 s[4:5], 0
	s_waitcnt vmcnt(0) lgkmcnt(0)
	v_div_scale_f32 v9, s[6:7], v72, v72, v8
	v_rcp_f32_e32 v11, v9
	v_div_scale_f32 v10, vcc, v8, v72, v8
	v_fma_f32 v12, -v9, v11, 1.0
	v_fmac_f32_e32 v11, v12, v11
	v_mul_f32_e32 v12, v10, v11
	v_fma_f32 v13, -v9, v12, v10
	v_fmac_f32_e32 v12, v13, v11
	v_fma_f32 v9, -v9, v12, v10
	v_div_fmas_f32 v9, v9, v11, v12
	v_div_fixup_f32 v8, v9, v72, v8
	global_store_dword v[0:1], v8, off
	flat_load_dword v8, v[2:3] offset:4
	s_waitcnt vmcnt(0) lgkmcnt(0)
	v_div_scale_f32 v9, s[6:7], v72, v72, v8
	v_rcp_f32_e32 v11, v9
	v_div_scale_f32 v10, vcc, v8, v72, v8
	v_fma_f32 v12, -v9, v11, 1.0
	v_fmac_f32_e32 v11, v12, v11
	v_mul_f32_e32 v12, v10, v11
	v_fma_f32 v13, -v9, v12, v10
	v_fmac_f32_e32 v12, v13, v11
	v_fma_f32 v9, -v9, v12, v10
	v_div_fmas_f32 v9, v9, v11, v12
	v_div_fixup_f32 v8, v9, v72, v8
	global_store_dword v[0:1], v8, off offset:4
	flat_load_dword v8, v[2:3] offset:8
	s_waitcnt vmcnt(0) lgkmcnt(0)
	v_div_scale_f32 v9, s[6:7], v72, v72, v8
	v_rcp_f32_e32 v11, v9
	v_div_scale_f32 v10, vcc, v8, v72, v8
	v_fma_f32 v12, -v9, v11, 1.0
	v_fmac_f32_e32 v11, v12, v11
	v_mul_f32_e32 v12, v10, v11
	v_fma_f32 v13, -v9, v12, v10
	v_fmac_f32_e32 v12, v13, v11
	v_fma_f32 v9, -v9, v12, v10
	v_div_fmas_f32 v9, v9, v11, v12
	v_div_fixup_f32 v8, v9, v72, v8
	global_store_dword v[0:1], v8, off offset:8
	;; [unrolled: 14-line block ×7, first 2 shown]
	s_cbranch_scc1 .LBB10_220
.LBB10_221:
	s_and_b32 s0, s76, 7
	s_mov_b32 s1, 0
	s_cmp_eq_u64 s[0:1], 0
	s_cbranch_scc1 .LBB10_224
; %bb.222:
	s_mov_b64 s[4:5], s[0:1]
.LBB10_223:                             ; =>This Inner Loop Header: Depth=1
	s_lshl_b64 s[6:7], s[2:3], 2
	v_mov_b32_e32 v2, s7
	v_add_co_u32_e32 v0, vcc, s6, v6
	v_addc_co_u32_e32 v1, vcc, v7, v2, vcc
	flat_load_dword v3, v[0:1]
	v_add_co_u32_e32 v0, vcc, s6, v4
	v_addc_co_u32_e32 v1, vcc, v5, v2, vcc
	s_add_i32 s0, s2, 1
	s_add_u32 s4, s4, -1
	s_addc_u32 s5, s5, -1
	s_mov_b64 s[2:3], s[0:1]
	s_cmp_lg_u64 s[4:5], 0
	s_waitcnt vmcnt(0) lgkmcnt(0)
	v_div_scale_f32 v2, s[6:7], v72, v72, v3
	v_rcp_f32_e32 v8, v2
	v_div_scale_f32 v9, vcc, v3, v72, v3
	v_fma_f32 v10, -v2, v8, 1.0
	v_fmac_f32_e32 v8, v10, v8
	v_mul_f32_e32 v10, v9, v8
	v_fma_f32 v11, -v2, v10, v9
	v_fmac_f32_e32 v10, v11, v8
	v_fma_f32 v2, -v2, v10, v9
	v_div_fmas_f32 v2, v2, v8, v10
	v_div_fixup_f32 v2, v2, v72, v3
	global_store_dword v[0:1], v2, off
	s_cbranch_scc1 .LBB10_223
.LBB10_224:
	s_endpgm
	.section	.rodata,"a",@progbits
	.p2align	6, 0x0
	.amdhsa_kernel _Z21moe_fused_gate_kernelItLi32ELi128ELi4ELi1EEvPvS0_PfPilllldi
		.amdhsa_group_segment_fixed_size 0
		.amdhsa_private_segment_fixed_size 0
		.amdhsa_kernarg_size 76
		.amdhsa_user_sgpr_count 6
		.amdhsa_user_sgpr_private_segment_buffer 1
		.amdhsa_user_sgpr_dispatch_ptr 0
		.amdhsa_user_sgpr_queue_ptr 0
		.amdhsa_user_sgpr_kernarg_segment_ptr 1
		.amdhsa_user_sgpr_dispatch_id 0
		.amdhsa_user_sgpr_flat_scratch_init 0
		.amdhsa_user_sgpr_kernarg_preload_length 0
		.amdhsa_user_sgpr_kernarg_preload_offset 0
		.amdhsa_user_sgpr_private_segment_size 0
		.amdhsa_uses_dynamic_stack 0
		.amdhsa_system_sgpr_private_segment_wavefront_offset 0
		.amdhsa_system_sgpr_workgroup_id_x 1
		.amdhsa_system_sgpr_workgroup_id_y 0
		.amdhsa_system_sgpr_workgroup_id_z 0
		.amdhsa_system_sgpr_workgroup_info 0
		.amdhsa_system_vgpr_workitem_id 1
		.amdhsa_next_free_vgpr 82
		.amdhsa_next_free_sgpr 85
		.amdhsa_accum_offset 84
		.amdhsa_reserve_vcc 1
		.amdhsa_reserve_flat_scratch 0
		.amdhsa_float_round_mode_32 0
		.amdhsa_float_round_mode_16_64 0
		.amdhsa_float_denorm_mode_32 3
		.amdhsa_float_denorm_mode_16_64 3
		.amdhsa_dx10_clamp 1
		.amdhsa_ieee_mode 1
		.amdhsa_fp16_overflow 0
		.amdhsa_tg_split 0
		.amdhsa_exception_fp_ieee_invalid_op 0
		.amdhsa_exception_fp_denorm_src 0
		.amdhsa_exception_fp_ieee_div_zero 0
		.amdhsa_exception_fp_ieee_overflow 0
		.amdhsa_exception_fp_ieee_underflow 0
		.amdhsa_exception_fp_ieee_inexact 0
		.amdhsa_exception_int_div_zero 0
	.end_amdhsa_kernel
	.section	.text._Z21moe_fused_gate_kernelItLi32ELi128ELi4ELi1EEvPvS0_PfPilllldi,"axG",@progbits,_Z21moe_fused_gate_kernelItLi32ELi128ELi4ELi1EEvPvS0_PfPilllldi,comdat
.Lfunc_end10:
	.size	_Z21moe_fused_gate_kernelItLi32ELi128ELi4ELi1EEvPvS0_PfPilllldi, .Lfunc_end10-_Z21moe_fused_gate_kernelItLi32ELi128ELi4ELi1EEvPvS0_PfPilllldi
                                        ; -- End function
	.section	.AMDGPU.csdata,"",@progbits
; Kernel info:
; codeLenInByte = 12116
; NumSgprs: 89
; NumVgprs: 82
; NumAgprs: 0
; TotalNumVgprs: 82
; ScratchSize: 0
; MemoryBound: 1
; FloatMode: 240
; IeeeMode: 1
; LDSByteSize: 0 bytes/workgroup (compile time only)
; SGPRBlocks: 11
; VGPRBlocks: 10
; NumSGPRsForWavesPerEU: 89
; NumVGPRsForWavesPerEU: 82
; AccumOffset: 84
; Occupancy: 5
; WaveLimiterHint : 0
; COMPUTE_PGM_RSRC2:SCRATCH_EN: 0
; COMPUTE_PGM_RSRC2:USER_SGPR: 6
; COMPUTE_PGM_RSRC2:TRAP_HANDLER: 0
; COMPUTE_PGM_RSRC2:TGID_X_EN: 1
; COMPUTE_PGM_RSRC2:TGID_Y_EN: 0
; COMPUTE_PGM_RSRC2:TGID_Z_EN: 0
; COMPUTE_PGM_RSRC2:TIDIG_COMP_CNT: 1
; COMPUTE_PGM_RSRC3_GFX90A:ACCUM_OFFSET: 20
; COMPUTE_PGM_RSRC3_GFX90A:TG_SPLIT: 0
	.section	.text._Z21moe_fused_gate_kernelIDF16_Li32ELi128ELi4ELi1EEvPvS0_PfPilllldi,"axG",@progbits,_Z21moe_fused_gate_kernelIDF16_Li32ELi128ELi4ELi1EEvPvS0_PfPilllldi,comdat
	.protected	_Z21moe_fused_gate_kernelIDF16_Li32ELi128ELi4ELi1EEvPvS0_PfPilllldi ; -- Begin function _Z21moe_fused_gate_kernelIDF16_Li32ELi128ELi4ELi1EEvPvS0_PfPilllldi
	.globl	_Z21moe_fused_gate_kernelIDF16_Li32ELi128ELi4ELi1EEvPvS0_PfPilllldi
	.p2align	8
	.type	_Z21moe_fused_gate_kernelIDF16_Li32ELi128ELi4ELi1EEvPvS0_PfPilllldi,@function
_Z21moe_fused_gate_kernelIDF16_Li32ELi128ELi4ELi1EEvPvS0_PfPilllldi: ; @_Z21moe_fused_gate_kernelIDF16_Li32ELi128ELi4ELi1EEvPvS0_PfPilllldi
; %bb.0:
	s_load_dwordx16 s[64:79], s[4:5], 0x0
	v_and_b32_e32 v64, 0x3ff, v0
	v_bfe_u32 v0, v0, 10, 10
	v_add_u32_e32 v0, s6, v0
	v_lshrrev_b32_e32 v1, 2, v64
	v_mov_b32_e32 v69, 0
	v_lshl_add_u32 v32, v0, 4, v1
	v_mov_b32_e32 v33, v69
	s_waitcnt lgkmcnt(0)
	v_cmp_gt_i64_e32 vcc, s[72:73], v[32:33]
	s_and_saveexec_b64 s[0:1], vcc
	s_cbranch_execz .LBB11_224
; %bb.1:
	v_lshlrev_b64 v[0:1], 8, v[32:33]
	v_mov_b32_e32 v2, s65
	v_add_co_u32_e32 v0, vcc, s64, v0
	v_and_b32_e32 v68, 3, v64
	v_addc_co_u32_e32 v1, vcc, v2, v1, vcc
	v_lshlrev_b32_e32 v36, 6, v68
	v_add_co_u32_e32 v34, vcc, v0, v36
	v_addc_co_u32_e32 v35, vcc, 0, v1, vcc
	global_load_dwordx4 v[16:19], v[34:35], off offset:48
	global_load_dwordx4 v[20:23], v[34:35], off offset:32
	;; [unrolled: 1-line block ×3, first 2 shown]
	global_load_dwordx4 v[28:31], v[34:35], off
	global_load_dwordx4 v[0:3], v36, s[66:67] offset:48
	global_load_dwordx4 v[4:7], v36, s[66:67] offset:32
	;; [unrolled: 1-line block ×3, first 2 shown]
	global_load_dwordx4 v[12:15], v36, s[66:67]
	s_waitcnt vmcnt(4)
	v_cmp_o_f16_e32 vcc, v28, v28
	s_and_saveexec_b64 s[0:1], vcc
	s_cbranch_execz .LBB11_3
; %bb.2:
	v_cvt_f32_f16_e64 v34, -v28
	s_mov_b32 s2, 0x3fb8aa3b
	s_mov_b32 s3, 0x32a5705f
	v_mul_f32_e32 v35, 0x3fb8aa3b, v34
	v_rndne_f32_e32 v36, v35
	v_fma_mix_f32 v37, -v28, s2, -v35 op_sel_hi:[1,0,0]
	v_sub_f32_e32 v35, v35, v36
	v_fma_mix_f32 v37, -v28, s3, v37 op_sel_hi:[1,0,0]
	v_add_f32_e32 v35, v35, v37
	v_cvt_i32_f32_e32 v36, v36
	v_exp_f32_e32 v35, v35
	s_mov_b32 s2, 0xc2ce8ed0
	v_cmp_ngt_f32_e32 vcc, s2, v34
	s_mov_b32 s2, 0x42b17218
	v_ldexp_f32 v35, v35, v36
	v_cndmask_b32_e32 v35, 0, v35, vcc
	v_mov_b32_e32 v36, 0x7f800000
	v_cmp_nlt_f32_e32 vcc, s2, v34
	v_cndmask_b32_e32 v34, v36, v35, vcc
	v_add_f32_e32 v34, 1.0, v34
	v_div_scale_f32 v35, s[2:3], v34, v34, 1.0
	v_rcp_f32_e32 v36, v35
	v_fma_f32 v37, -v35, v36, 1.0
	v_fmac_f32_e32 v36, v37, v36
	v_div_scale_f32 v37, vcc, 1.0, v34, 1.0
	v_mul_f32_e32 v38, v37, v36
	v_fma_f32 v39, -v35, v38, v37
	v_fmac_f32_e32 v38, v39, v36
	v_fma_f32 v35, -v35, v38, v37
	v_div_fmas_f32 v35, v35, v36, v38
	v_div_fixup_f32 v69, v35, v34, 1.0
.LBB11_3:
	s_or_b64 exec, exec, s[0:1]
	v_lshrrev_b32_e32 v34, 16, v28
	v_cmp_o_f16_e32 vcc, v34, v34
	v_mov_b32_e32 v28, 0
	v_mov_b32_e32 v70, 0
	s_and_saveexec_b64 s[0:1], vcc
	s_cbranch_execz .LBB11_5
; %bb.4:
	v_cvt_f32_f16_e64 v35, -v34
	s_mov_b32 s2, 0x3fb8aa3b
	s_mov_b32 s3, 0x32a5705f
	v_mul_f32_e32 v36, 0x3fb8aa3b, v35
	v_rndne_f32_e32 v37, v36
	v_fma_mix_f32 v38, -v34, s2, -v36 op_sel_hi:[1,0,0]
	v_sub_f32_e32 v36, v36, v37
	v_fma_mix_f32 v34, -v34, s3, v38 op_sel_hi:[1,0,0]
	v_add_f32_e32 v34, v36, v34
	v_cvt_i32_f32_e32 v36, v37
	v_exp_f32_e32 v34, v34
	s_mov_b32 s2, 0xc2ce8ed0
	v_cmp_ngt_f32_e32 vcc, s2, v35
	s_mov_b32 s2, 0x42b17218
	v_ldexp_f32 v34, v34, v36
	v_cndmask_b32_e32 v34, 0, v34, vcc
	v_mov_b32_e32 v36, 0x7f800000
	v_cmp_nlt_f32_e32 vcc, s2, v35
	v_cndmask_b32_e32 v34, v36, v34, vcc
	v_add_f32_e32 v34, 1.0, v34
	v_div_scale_f32 v35, s[2:3], v34, v34, 1.0
	v_rcp_f32_e32 v36, v35
	v_fma_f32 v37, -v35, v36, 1.0
	v_fmac_f32_e32 v36, v37, v36
	v_div_scale_f32 v37, vcc, 1.0, v34, 1.0
	v_mul_f32_e32 v38, v37, v36
	v_fma_f32 v39, -v35, v38, v37
	v_fmac_f32_e32 v38, v39, v36
	v_fma_f32 v35, -v35, v38, v37
	v_div_fmas_f32 v35, v35, v36, v38
	v_div_fixup_f32 v70, v35, v34, 1.0
.LBB11_5:
	s_or_b64 exec, exec, s[0:1]
	v_cmp_o_f16_e32 vcc, v29, v29
	s_and_saveexec_b64 s[0:1], vcc
	s_cbranch_execz .LBB11_7
; %bb.6:
	v_cvt_f32_f16_e64 v28, -v29
	s_mov_b32 s2, 0x3fb8aa3b
	s_mov_b32 s3, 0x32a5705f
	v_mul_f32_e32 v34, 0x3fb8aa3b, v28
	v_rndne_f32_e32 v35, v34
	v_fma_mix_f32 v36, -v29, s2, -v34 op_sel_hi:[1,0,0]
	v_sub_f32_e32 v34, v34, v35
	v_fma_mix_f32 v36, -v29, s3, v36 op_sel_hi:[1,0,0]
	v_add_f32_e32 v34, v34, v36
	v_cvt_i32_f32_e32 v35, v35
	v_exp_f32_e32 v34, v34
	s_mov_b32 s2, 0xc2ce8ed0
	v_cmp_ngt_f32_e32 vcc, s2, v28
	s_mov_b32 s2, 0x42b17218
	v_ldexp_f32 v34, v34, v35
	v_cndmask_b32_e32 v34, 0, v34, vcc
	v_mov_b32_e32 v35, 0x7f800000
	v_cmp_nlt_f32_e32 vcc, s2, v28
	v_cndmask_b32_e32 v28, v35, v34, vcc
	v_add_f32_e32 v28, 1.0, v28
	v_div_scale_f32 v34, s[2:3], v28, v28, 1.0
	v_rcp_f32_e32 v35, v34
	v_fma_f32 v36, -v34, v35, 1.0
	v_fmac_f32_e32 v35, v36, v35
	v_div_scale_f32 v36, vcc, 1.0, v28, 1.0
	v_mul_f32_e32 v37, v36, v35
	v_fma_f32 v38, -v34, v37, v36
	v_fmac_f32_e32 v37, v38, v35
	v_fma_f32 v34, -v34, v37, v36
	v_div_fmas_f32 v34, v34, v35, v37
	v_div_fixup_f32 v28, v34, v28, 1.0
.LBB11_7:
	s_or_b64 exec, exec, s[0:1]
	v_lshrrev_b32_e32 v35, 16, v29
	v_cmp_o_f16_e32 vcc, v35, v35
	v_mov_b32_e32 v34, 0
	v_mov_b32_e32 v29, 0
	s_and_saveexec_b64 s[0:1], vcc
	s_cbranch_execz .LBB11_9
; %bb.8:
	v_cvt_f32_f16_e64 v29, -v35
	s_mov_b32 s2, 0x3fb8aa3b
	s_mov_b32 s3, 0x32a5705f
	v_mul_f32_e32 v36, 0x3fb8aa3b, v29
	v_rndne_f32_e32 v37, v36
	v_fma_mix_f32 v38, -v35, s2, -v36 op_sel_hi:[1,0,0]
	v_sub_f32_e32 v36, v36, v37
	v_fma_mix_f32 v35, -v35, s3, v38 op_sel_hi:[1,0,0]
	v_add_f32_e32 v35, v36, v35
	v_cvt_i32_f32_e32 v36, v37
	v_exp_f32_e32 v35, v35
	s_mov_b32 s2, 0xc2ce8ed0
	v_cmp_ngt_f32_e32 vcc, s2, v29
	s_mov_b32 s2, 0x42b17218
	v_ldexp_f32 v35, v35, v36
	v_cndmask_b32_e32 v35, 0, v35, vcc
	v_mov_b32_e32 v36, 0x7f800000
	v_cmp_nlt_f32_e32 vcc, s2, v29
	v_cndmask_b32_e32 v29, v36, v35, vcc
	v_add_f32_e32 v29, 1.0, v29
	v_div_scale_f32 v35, s[2:3], v29, v29, 1.0
	v_rcp_f32_e32 v36, v35
	v_fma_f32 v37, -v35, v36, 1.0
	v_fmac_f32_e32 v36, v37, v36
	v_div_scale_f32 v37, vcc, 1.0, v29, 1.0
	v_mul_f32_e32 v38, v37, v36
	v_fma_f32 v39, -v35, v38, v37
	v_fmac_f32_e32 v38, v39, v36
	v_fma_f32 v35, -v35, v38, v37
	v_div_fmas_f32 v35, v35, v36, v38
	v_div_fixup_f32 v29, v35, v29, 1.0
.LBB11_9:
	s_or_b64 exec, exec, s[0:1]
	v_cmp_o_f16_e32 vcc, v30, v30
	s_and_saveexec_b64 s[0:1], vcc
	s_cbranch_execz .LBB11_11
; %bb.10:
	v_cvt_f32_f16_e64 v34, -v30
	s_mov_b32 s2, 0x3fb8aa3b
	s_mov_b32 s3, 0x32a5705f
	v_mul_f32_e32 v35, 0x3fb8aa3b, v34
	v_rndne_f32_e32 v36, v35
	v_fma_mix_f32 v37, -v30, s2, -v35 op_sel_hi:[1,0,0]
	v_sub_f32_e32 v35, v35, v36
	v_fma_mix_f32 v37, -v30, s3, v37 op_sel_hi:[1,0,0]
	v_add_f32_e32 v35, v35, v37
	v_cvt_i32_f32_e32 v36, v36
	v_exp_f32_e32 v35, v35
	s_mov_b32 s2, 0xc2ce8ed0
	v_cmp_ngt_f32_e32 vcc, s2, v34
	s_mov_b32 s2, 0x42b17218
	v_ldexp_f32 v35, v35, v36
	v_cndmask_b32_e32 v35, 0, v35, vcc
	v_mov_b32_e32 v36, 0x7f800000
	v_cmp_nlt_f32_e32 vcc, s2, v34
	v_cndmask_b32_e32 v34, v36, v35, vcc
	v_add_f32_e32 v34, 1.0, v34
	v_div_scale_f32 v35, s[2:3], v34, v34, 1.0
	v_rcp_f32_e32 v36, v35
	v_fma_f32 v37, -v35, v36, 1.0
	v_fmac_f32_e32 v36, v37, v36
	v_div_scale_f32 v37, vcc, 1.0, v34, 1.0
	v_mul_f32_e32 v38, v37, v36
	v_fma_f32 v39, -v35, v38, v37
	v_fmac_f32_e32 v38, v39, v36
	v_fma_f32 v35, -v35, v38, v37
	v_div_fmas_f32 v35, v35, v36, v38
	v_div_fixup_f32 v34, v35, v34, 1.0
.LBB11_11:
	s_or_b64 exec, exec, s[0:1]
	v_lshrrev_b32_e32 v36, 16, v30
	v_cmp_o_f16_e32 vcc, v36, v36
	v_mov_b32_e32 v30, 0
	v_mov_b32_e32 v35, 0
	s_and_saveexec_b64 s[0:1], vcc
	s_cbranch_execz .LBB11_13
; %bb.12:
	v_cvt_f32_f16_e64 v35, -v36
	s_mov_b32 s2, 0x3fb8aa3b
	s_mov_b32 s3, 0x32a5705f
	v_mul_f32_e32 v37, 0x3fb8aa3b, v35
	v_rndne_f32_e32 v38, v37
	v_fma_mix_f32 v39, -v36, s2, -v37 op_sel_hi:[1,0,0]
	v_sub_f32_e32 v37, v37, v38
	v_fma_mix_f32 v36, -v36, s3, v39 op_sel_hi:[1,0,0]
	v_add_f32_e32 v36, v37, v36
	v_cvt_i32_f32_e32 v37, v38
	v_exp_f32_e32 v36, v36
	s_mov_b32 s2, 0xc2ce8ed0
	v_cmp_ngt_f32_e32 vcc, s2, v35
	s_mov_b32 s2, 0x42b17218
	v_ldexp_f32 v36, v36, v37
	v_cndmask_b32_e32 v36, 0, v36, vcc
	v_mov_b32_e32 v37, 0x7f800000
	v_cmp_nlt_f32_e32 vcc, s2, v35
	v_cndmask_b32_e32 v35, v37, v36, vcc
	v_add_f32_e32 v35, 1.0, v35
	v_div_scale_f32 v36, s[2:3], v35, v35, 1.0
	v_rcp_f32_e32 v37, v36
	v_fma_f32 v38, -v36, v37, 1.0
	v_fmac_f32_e32 v37, v38, v37
	v_div_scale_f32 v38, vcc, 1.0, v35, 1.0
	v_mul_f32_e32 v39, v38, v37
	v_fma_f32 v40, -v36, v39, v38
	v_fmac_f32_e32 v39, v40, v37
	v_fma_f32 v36, -v36, v39, v38
	v_div_fmas_f32 v36, v36, v37, v39
	v_div_fixup_f32 v35, v36, v35, 1.0
.LBB11_13:
	s_or_b64 exec, exec, s[0:1]
	v_cmp_o_f16_e32 vcc, v31, v31
	s_and_saveexec_b64 s[0:1], vcc
	s_cbranch_execz .LBB11_15
; %bb.14:
	v_cvt_f32_f16_e64 v30, -v31
	s_mov_b32 s2, 0x3fb8aa3b
	s_mov_b32 s3, 0x32a5705f
	v_mul_f32_e32 v36, 0x3fb8aa3b, v30
	v_rndne_f32_e32 v37, v36
	v_fma_mix_f32 v38, -v31, s2, -v36 op_sel_hi:[1,0,0]
	v_sub_f32_e32 v36, v36, v37
	v_fma_mix_f32 v38, -v31, s3, v38 op_sel_hi:[1,0,0]
	v_add_f32_e32 v36, v36, v38
	v_cvt_i32_f32_e32 v37, v37
	v_exp_f32_e32 v36, v36
	s_mov_b32 s2, 0xc2ce8ed0
	v_cmp_ngt_f32_e32 vcc, s2, v30
	s_mov_b32 s2, 0x42b17218
	v_ldexp_f32 v36, v36, v37
	v_cndmask_b32_e32 v36, 0, v36, vcc
	v_mov_b32_e32 v37, 0x7f800000
	v_cmp_nlt_f32_e32 vcc, s2, v30
	v_cndmask_b32_e32 v30, v37, v36, vcc
	v_add_f32_e32 v30, 1.0, v30
	v_div_scale_f32 v36, s[2:3], v30, v30, 1.0
	v_rcp_f32_e32 v37, v36
	v_fma_f32 v38, -v36, v37, 1.0
	v_fmac_f32_e32 v37, v38, v37
	v_div_scale_f32 v38, vcc, 1.0, v30, 1.0
	v_mul_f32_e32 v39, v38, v37
	v_fma_f32 v40, -v36, v39, v38
	v_fmac_f32_e32 v39, v40, v37
	v_fma_f32 v36, -v36, v39, v38
	v_div_fmas_f32 v36, v36, v37, v39
	v_div_fixup_f32 v30, v36, v30, 1.0
.LBB11_15:
	s_or_b64 exec, exec, s[0:1]
	v_lshrrev_b32_e32 v37, 16, v31
	v_cmp_o_f16_e32 vcc, v37, v37
	v_mov_b32_e32 v36, 0
	v_mov_b32_e32 v31, 0
	s_and_saveexec_b64 s[0:1], vcc
	s_cbranch_execz .LBB11_17
; %bb.16:
	v_cvt_f32_f16_e64 v31, -v37
	s_mov_b32 s2, 0x3fb8aa3b
	s_mov_b32 s3, 0x32a5705f
	v_mul_f32_e32 v38, 0x3fb8aa3b, v31
	v_rndne_f32_e32 v39, v38
	v_fma_mix_f32 v40, -v37, s2, -v38 op_sel_hi:[1,0,0]
	v_sub_f32_e32 v38, v38, v39
	v_fma_mix_f32 v37, -v37, s3, v40 op_sel_hi:[1,0,0]
	v_add_f32_e32 v37, v38, v37
	v_cvt_i32_f32_e32 v38, v39
	v_exp_f32_e32 v37, v37
	s_mov_b32 s2, 0xc2ce8ed0
	v_cmp_ngt_f32_e32 vcc, s2, v31
	s_mov_b32 s2, 0x42b17218
	v_ldexp_f32 v37, v37, v38
	v_cndmask_b32_e32 v37, 0, v37, vcc
	v_mov_b32_e32 v38, 0x7f800000
	v_cmp_nlt_f32_e32 vcc, s2, v31
	v_cndmask_b32_e32 v31, v38, v37, vcc
	v_add_f32_e32 v31, 1.0, v31
	v_div_scale_f32 v37, s[2:3], v31, v31, 1.0
	v_rcp_f32_e32 v38, v37
	v_fma_f32 v39, -v37, v38, 1.0
	v_fmac_f32_e32 v38, v39, v38
	v_div_scale_f32 v39, vcc, 1.0, v31, 1.0
	v_mul_f32_e32 v40, v39, v38
	v_fma_f32 v41, -v37, v40, v39
	v_fmac_f32_e32 v40, v41, v38
	v_fma_f32 v37, -v37, v40, v39
	v_div_fmas_f32 v37, v37, v38, v40
	v_div_fixup_f32 v31, v37, v31, 1.0
.LBB11_17:
	s_or_b64 exec, exec, s[0:1]
	v_cmp_o_f16_e32 vcc, v24, v24
	s_and_saveexec_b64 s[0:1], vcc
	s_cbranch_execz .LBB11_19
; %bb.18:
	v_cvt_f32_f16_e64 v36, -v24
	s_mov_b32 s2, 0x3fb8aa3b
	s_mov_b32 s3, 0x32a5705f
	v_mul_f32_e32 v37, 0x3fb8aa3b, v36
	v_rndne_f32_e32 v38, v37
	v_fma_mix_f32 v39, -v24, s2, -v37 op_sel_hi:[1,0,0]
	v_sub_f32_e32 v37, v37, v38
	v_fma_mix_f32 v39, -v24, s3, v39 op_sel_hi:[1,0,0]
	v_add_f32_e32 v37, v37, v39
	v_cvt_i32_f32_e32 v38, v38
	v_exp_f32_e32 v37, v37
	s_mov_b32 s2, 0xc2ce8ed0
	v_cmp_ngt_f32_e32 vcc, s2, v36
	s_mov_b32 s2, 0x42b17218
	v_ldexp_f32 v37, v37, v38
	v_cndmask_b32_e32 v37, 0, v37, vcc
	v_mov_b32_e32 v38, 0x7f800000
	v_cmp_nlt_f32_e32 vcc, s2, v36
	v_cndmask_b32_e32 v36, v38, v37, vcc
	v_add_f32_e32 v36, 1.0, v36
	v_div_scale_f32 v37, s[2:3], v36, v36, 1.0
	v_rcp_f32_e32 v38, v37
	v_fma_f32 v39, -v37, v38, 1.0
	v_fmac_f32_e32 v38, v39, v38
	v_div_scale_f32 v39, vcc, 1.0, v36, 1.0
	v_mul_f32_e32 v40, v39, v38
	v_fma_f32 v41, -v37, v40, v39
	v_fmac_f32_e32 v40, v41, v38
	v_fma_f32 v37, -v37, v40, v39
	v_div_fmas_f32 v37, v37, v38, v40
	v_div_fixup_f32 v36, v37, v36, 1.0
.LBB11_19:
	s_or_b64 exec, exec, s[0:1]
	v_lshrrev_b32_e32 v38, 16, v24
	v_cmp_o_f16_e32 vcc, v38, v38
	v_mov_b32_e32 v24, 0
	v_mov_b32_e32 v37, 0
	s_and_saveexec_b64 s[0:1], vcc
	s_cbranch_execz .LBB11_21
; %bb.20:
	v_cvt_f32_f16_e64 v37, -v38
	s_mov_b32 s2, 0x3fb8aa3b
	s_mov_b32 s3, 0x32a5705f
	v_mul_f32_e32 v39, 0x3fb8aa3b, v37
	v_rndne_f32_e32 v40, v39
	v_fma_mix_f32 v41, -v38, s2, -v39 op_sel_hi:[1,0,0]
	v_sub_f32_e32 v39, v39, v40
	v_fma_mix_f32 v38, -v38, s3, v41 op_sel_hi:[1,0,0]
	v_add_f32_e32 v38, v39, v38
	v_cvt_i32_f32_e32 v39, v40
	v_exp_f32_e32 v38, v38
	s_mov_b32 s2, 0xc2ce8ed0
	v_cmp_ngt_f32_e32 vcc, s2, v37
	s_mov_b32 s2, 0x42b17218
	v_ldexp_f32 v38, v38, v39
	v_cndmask_b32_e32 v38, 0, v38, vcc
	v_mov_b32_e32 v39, 0x7f800000
	v_cmp_nlt_f32_e32 vcc, s2, v37
	v_cndmask_b32_e32 v37, v39, v38, vcc
	v_add_f32_e32 v37, 1.0, v37
	v_div_scale_f32 v38, s[2:3], v37, v37, 1.0
	v_rcp_f32_e32 v39, v38
	v_fma_f32 v40, -v38, v39, 1.0
	v_fmac_f32_e32 v39, v40, v39
	v_div_scale_f32 v40, vcc, 1.0, v37, 1.0
	v_mul_f32_e32 v41, v40, v39
	v_fma_f32 v42, -v38, v41, v40
	v_fmac_f32_e32 v41, v42, v39
	v_fma_f32 v38, -v38, v41, v40
	v_div_fmas_f32 v38, v38, v39, v41
	v_div_fixup_f32 v37, v38, v37, 1.0
.LBB11_21:
	s_or_b64 exec, exec, s[0:1]
	v_cmp_o_f16_e32 vcc, v25, v25
	s_and_saveexec_b64 s[0:1], vcc
	s_cbranch_execz .LBB11_23
; %bb.22:
	v_cvt_f32_f16_e64 v24, -v25
	s_mov_b32 s2, 0x3fb8aa3b
	s_mov_b32 s3, 0x32a5705f
	v_mul_f32_e32 v38, 0x3fb8aa3b, v24
	v_rndne_f32_e32 v39, v38
	v_fma_mix_f32 v40, -v25, s2, -v38 op_sel_hi:[1,0,0]
	v_sub_f32_e32 v38, v38, v39
	v_fma_mix_f32 v40, -v25, s3, v40 op_sel_hi:[1,0,0]
	v_add_f32_e32 v38, v38, v40
	v_cvt_i32_f32_e32 v39, v39
	v_exp_f32_e32 v38, v38
	s_mov_b32 s2, 0xc2ce8ed0
	v_cmp_ngt_f32_e32 vcc, s2, v24
	s_mov_b32 s2, 0x42b17218
	v_ldexp_f32 v38, v38, v39
	v_cndmask_b32_e32 v38, 0, v38, vcc
	v_mov_b32_e32 v39, 0x7f800000
	v_cmp_nlt_f32_e32 vcc, s2, v24
	v_cndmask_b32_e32 v24, v39, v38, vcc
	v_add_f32_e32 v24, 1.0, v24
	v_div_scale_f32 v38, s[2:3], v24, v24, 1.0
	v_rcp_f32_e32 v39, v38
	v_fma_f32 v40, -v38, v39, 1.0
	v_fmac_f32_e32 v39, v40, v39
	v_div_scale_f32 v40, vcc, 1.0, v24, 1.0
	v_mul_f32_e32 v41, v40, v39
	v_fma_f32 v42, -v38, v41, v40
	v_fmac_f32_e32 v41, v42, v39
	v_fma_f32 v38, -v38, v41, v40
	v_div_fmas_f32 v38, v38, v39, v41
	v_div_fixup_f32 v24, v38, v24, 1.0
.LBB11_23:
	s_or_b64 exec, exec, s[0:1]
	v_lshrrev_b32_e32 v39, 16, v25
	v_cmp_o_f16_e32 vcc, v39, v39
	v_mov_b32_e32 v38, 0
	v_mov_b32_e32 v25, 0
	s_and_saveexec_b64 s[0:1], vcc
	s_cbranch_execz .LBB11_25
; %bb.24:
	v_cvt_f32_f16_e64 v25, -v39
	s_mov_b32 s2, 0x3fb8aa3b
	s_mov_b32 s3, 0x32a5705f
	v_mul_f32_e32 v40, 0x3fb8aa3b, v25
	v_rndne_f32_e32 v41, v40
	v_fma_mix_f32 v42, -v39, s2, -v40 op_sel_hi:[1,0,0]
	v_sub_f32_e32 v40, v40, v41
	v_fma_mix_f32 v39, -v39, s3, v42 op_sel_hi:[1,0,0]
	v_add_f32_e32 v39, v40, v39
	v_cvt_i32_f32_e32 v40, v41
	v_exp_f32_e32 v39, v39
	s_mov_b32 s2, 0xc2ce8ed0
	v_cmp_ngt_f32_e32 vcc, s2, v25
	s_mov_b32 s2, 0x42b17218
	v_ldexp_f32 v39, v39, v40
	v_cndmask_b32_e32 v39, 0, v39, vcc
	v_mov_b32_e32 v40, 0x7f800000
	v_cmp_nlt_f32_e32 vcc, s2, v25
	v_cndmask_b32_e32 v25, v40, v39, vcc
	v_add_f32_e32 v25, 1.0, v25
	v_div_scale_f32 v39, s[2:3], v25, v25, 1.0
	v_rcp_f32_e32 v40, v39
	v_fma_f32 v41, -v39, v40, 1.0
	v_fmac_f32_e32 v40, v41, v40
	v_div_scale_f32 v41, vcc, 1.0, v25, 1.0
	v_mul_f32_e32 v42, v41, v40
	v_fma_f32 v43, -v39, v42, v41
	v_fmac_f32_e32 v42, v43, v40
	v_fma_f32 v39, -v39, v42, v41
	v_div_fmas_f32 v39, v39, v40, v42
	v_div_fixup_f32 v25, v39, v25, 1.0
.LBB11_25:
	s_or_b64 exec, exec, s[0:1]
	v_cmp_o_f16_e32 vcc, v26, v26
	s_and_saveexec_b64 s[0:1], vcc
	s_cbranch_execz .LBB11_27
; %bb.26:
	v_cvt_f32_f16_e64 v38, -v26
	s_mov_b32 s2, 0x3fb8aa3b
	s_mov_b32 s3, 0x32a5705f
	v_mul_f32_e32 v39, 0x3fb8aa3b, v38
	v_rndne_f32_e32 v40, v39
	v_fma_mix_f32 v41, -v26, s2, -v39 op_sel_hi:[1,0,0]
	v_sub_f32_e32 v39, v39, v40
	v_fma_mix_f32 v41, -v26, s3, v41 op_sel_hi:[1,0,0]
	v_add_f32_e32 v39, v39, v41
	v_cvt_i32_f32_e32 v40, v40
	v_exp_f32_e32 v39, v39
	s_mov_b32 s2, 0xc2ce8ed0
	v_cmp_ngt_f32_e32 vcc, s2, v38
	s_mov_b32 s2, 0x42b17218
	v_ldexp_f32 v39, v39, v40
	v_cndmask_b32_e32 v39, 0, v39, vcc
	v_mov_b32_e32 v40, 0x7f800000
	v_cmp_nlt_f32_e32 vcc, s2, v38
	v_cndmask_b32_e32 v38, v40, v39, vcc
	v_add_f32_e32 v38, 1.0, v38
	v_div_scale_f32 v39, s[2:3], v38, v38, 1.0
	v_rcp_f32_e32 v40, v39
	v_fma_f32 v41, -v39, v40, 1.0
	v_fmac_f32_e32 v40, v41, v40
	v_div_scale_f32 v41, vcc, 1.0, v38, 1.0
	v_mul_f32_e32 v42, v41, v40
	v_fma_f32 v43, -v39, v42, v41
	v_fmac_f32_e32 v42, v43, v40
	v_fma_f32 v39, -v39, v42, v41
	v_div_fmas_f32 v39, v39, v40, v42
	v_div_fixup_f32 v38, v39, v38, 1.0
.LBB11_27:
	s_or_b64 exec, exec, s[0:1]
	v_lshrrev_b32_e32 v40, 16, v26
	v_cmp_o_f16_e32 vcc, v40, v40
	v_mov_b32_e32 v26, 0
	v_mov_b32_e32 v39, 0
	s_and_saveexec_b64 s[0:1], vcc
	s_cbranch_execz .LBB11_29
; %bb.28:
	v_cvt_f32_f16_e64 v39, -v40
	s_mov_b32 s2, 0x3fb8aa3b
	s_mov_b32 s3, 0x32a5705f
	v_mul_f32_e32 v41, 0x3fb8aa3b, v39
	v_rndne_f32_e32 v42, v41
	v_fma_mix_f32 v43, -v40, s2, -v41 op_sel_hi:[1,0,0]
	v_sub_f32_e32 v41, v41, v42
	v_fma_mix_f32 v40, -v40, s3, v43 op_sel_hi:[1,0,0]
	v_add_f32_e32 v40, v41, v40
	v_cvt_i32_f32_e32 v41, v42
	v_exp_f32_e32 v40, v40
	s_mov_b32 s2, 0xc2ce8ed0
	v_cmp_ngt_f32_e32 vcc, s2, v39
	s_mov_b32 s2, 0x42b17218
	v_ldexp_f32 v40, v40, v41
	v_cndmask_b32_e32 v40, 0, v40, vcc
	v_mov_b32_e32 v41, 0x7f800000
	v_cmp_nlt_f32_e32 vcc, s2, v39
	v_cndmask_b32_e32 v39, v41, v40, vcc
	v_add_f32_e32 v39, 1.0, v39
	v_div_scale_f32 v40, s[2:3], v39, v39, 1.0
	v_rcp_f32_e32 v41, v40
	v_fma_f32 v42, -v40, v41, 1.0
	v_fmac_f32_e32 v41, v42, v41
	v_div_scale_f32 v42, vcc, 1.0, v39, 1.0
	v_mul_f32_e32 v43, v42, v41
	v_fma_f32 v44, -v40, v43, v42
	v_fmac_f32_e32 v43, v44, v41
	v_fma_f32 v40, -v40, v43, v42
	v_div_fmas_f32 v40, v40, v41, v43
	v_div_fixup_f32 v39, v40, v39, 1.0
.LBB11_29:
	s_or_b64 exec, exec, s[0:1]
	v_cmp_o_f16_e32 vcc, v27, v27
	s_and_saveexec_b64 s[0:1], vcc
	s_cbranch_execz .LBB11_31
; %bb.30:
	v_cvt_f32_f16_e64 v26, -v27
	s_mov_b32 s2, 0x3fb8aa3b
	s_mov_b32 s3, 0x32a5705f
	v_mul_f32_e32 v40, 0x3fb8aa3b, v26
	v_rndne_f32_e32 v41, v40
	v_fma_mix_f32 v42, -v27, s2, -v40 op_sel_hi:[1,0,0]
	v_sub_f32_e32 v40, v40, v41
	v_fma_mix_f32 v42, -v27, s3, v42 op_sel_hi:[1,0,0]
	v_add_f32_e32 v40, v40, v42
	v_cvt_i32_f32_e32 v41, v41
	v_exp_f32_e32 v40, v40
	s_mov_b32 s2, 0xc2ce8ed0
	v_cmp_ngt_f32_e32 vcc, s2, v26
	s_mov_b32 s2, 0x42b17218
	v_ldexp_f32 v40, v40, v41
	v_cndmask_b32_e32 v40, 0, v40, vcc
	v_mov_b32_e32 v41, 0x7f800000
	v_cmp_nlt_f32_e32 vcc, s2, v26
	v_cndmask_b32_e32 v26, v41, v40, vcc
	v_add_f32_e32 v26, 1.0, v26
	v_div_scale_f32 v40, s[2:3], v26, v26, 1.0
	v_rcp_f32_e32 v41, v40
	v_fma_f32 v42, -v40, v41, 1.0
	v_fmac_f32_e32 v41, v42, v41
	v_div_scale_f32 v42, vcc, 1.0, v26, 1.0
	v_mul_f32_e32 v43, v42, v41
	v_fma_f32 v44, -v40, v43, v42
	v_fmac_f32_e32 v43, v44, v41
	v_fma_f32 v40, -v40, v43, v42
	v_div_fmas_f32 v40, v40, v41, v43
	v_div_fixup_f32 v26, v40, v26, 1.0
.LBB11_31:
	s_or_b64 exec, exec, s[0:1]
	v_lshrrev_b32_e32 v41, 16, v27
	v_cmp_o_f16_e32 vcc, v41, v41
	v_mov_b32_e32 v40, 0
	v_mov_b32_e32 v27, 0
	s_and_saveexec_b64 s[0:1], vcc
	s_cbranch_execz .LBB11_33
; %bb.32:
	v_cvt_f32_f16_e64 v27, -v41
	s_mov_b32 s2, 0x3fb8aa3b
	s_mov_b32 s3, 0x32a5705f
	v_mul_f32_e32 v42, 0x3fb8aa3b, v27
	v_rndne_f32_e32 v43, v42
	v_fma_mix_f32 v44, -v41, s2, -v42 op_sel_hi:[1,0,0]
	v_sub_f32_e32 v42, v42, v43
	v_fma_mix_f32 v41, -v41, s3, v44 op_sel_hi:[1,0,0]
	v_add_f32_e32 v41, v42, v41
	v_cvt_i32_f32_e32 v42, v43
	v_exp_f32_e32 v41, v41
	s_mov_b32 s2, 0xc2ce8ed0
	v_cmp_ngt_f32_e32 vcc, s2, v27
	s_mov_b32 s2, 0x42b17218
	v_ldexp_f32 v41, v41, v42
	v_cndmask_b32_e32 v41, 0, v41, vcc
	v_mov_b32_e32 v42, 0x7f800000
	v_cmp_nlt_f32_e32 vcc, s2, v27
	v_cndmask_b32_e32 v27, v42, v41, vcc
	v_add_f32_e32 v27, 1.0, v27
	v_div_scale_f32 v41, s[2:3], v27, v27, 1.0
	v_rcp_f32_e32 v42, v41
	v_fma_f32 v43, -v41, v42, 1.0
	v_fmac_f32_e32 v42, v43, v42
	v_div_scale_f32 v43, vcc, 1.0, v27, 1.0
	v_mul_f32_e32 v44, v43, v42
	v_fma_f32 v45, -v41, v44, v43
	v_fmac_f32_e32 v44, v45, v42
	v_fma_f32 v41, -v41, v44, v43
	v_div_fmas_f32 v41, v41, v42, v44
	v_div_fixup_f32 v27, v41, v27, 1.0
.LBB11_33:
	s_or_b64 exec, exec, s[0:1]
	v_cmp_o_f16_e32 vcc, v20, v20
	s_and_saveexec_b64 s[0:1], vcc
	s_cbranch_execz .LBB11_35
; %bb.34:
	v_cvt_f32_f16_e64 v40, -v20
	s_mov_b32 s2, 0x3fb8aa3b
	s_mov_b32 s3, 0x32a5705f
	v_mul_f32_e32 v41, 0x3fb8aa3b, v40
	v_rndne_f32_e32 v42, v41
	v_fma_mix_f32 v43, -v20, s2, -v41 op_sel_hi:[1,0,0]
	v_sub_f32_e32 v41, v41, v42
	v_fma_mix_f32 v43, -v20, s3, v43 op_sel_hi:[1,0,0]
	v_add_f32_e32 v41, v41, v43
	v_cvt_i32_f32_e32 v42, v42
	v_exp_f32_e32 v41, v41
	s_mov_b32 s2, 0xc2ce8ed0
	v_cmp_ngt_f32_e32 vcc, s2, v40
	s_mov_b32 s2, 0x42b17218
	v_ldexp_f32 v41, v41, v42
	v_cndmask_b32_e32 v41, 0, v41, vcc
	v_mov_b32_e32 v42, 0x7f800000
	v_cmp_nlt_f32_e32 vcc, s2, v40
	v_cndmask_b32_e32 v40, v42, v41, vcc
	v_add_f32_e32 v40, 1.0, v40
	v_div_scale_f32 v41, s[2:3], v40, v40, 1.0
	v_rcp_f32_e32 v42, v41
	v_fma_f32 v43, -v41, v42, 1.0
	v_fmac_f32_e32 v42, v43, v42
	v_div_scale_f32 v43, vcc, 1.0, v40, 1.0
	v_mul_f32_e32 v44, v43, v42
	v_fma_f32 v45, -v41, v44, v43
	v_fmac_f32_e32 v44, v45, v42
	v_fma_f32 v41, -v41, v44, v43
	v_div_fmas_f32 v41, v41, v42, v44
	v_div_fixup_f32 v40, v41, v40, 1.0
.LBB11_35:
	s_or_b64 exec, exec, s[0:1]
	v_lshrrev_b32_e32 v42, 16, v20
	v_cmp_o_f16_e32 vcc, v42, v42
	v_mov_b32_e32 v20, 0
	v_mov_b32_e32 v41, 0
	s_and_saveexec_b64 s[0:1], vcc
	s_cbranch_execz .LBB11_37
; %bb.36:
	v_cvt_f32_f16_e64 v41, -v42
	s_mov_b32 s2, 0x3fb8aa3b
	s_mov_b32 s3, 0x32a5705f
	v_mul_f32_e32 v43, 0x3fb8aa3b, v41
	v_rndne_f32_e32 v44, v43
	v_fma_mix_f32 v45, -v42, s2, -v43 op_sel_hi:[1,0,0]
	v_sub_f32_e32 v43, v43, v44
	v_fma_mix_f32 v42, -v42, s3, v45 op_sel_hi:[1,0,0]
	v_add_f32_e32 v42, v43, v42
	v_cvt_i32_f32_e32 v43, v44
	v_exp_f32_e32 v42, v42
	s_mov_b32 s2, 0xc2ce8ed0
	v_cmp_ngt_f32_e32 vcc, s2, v41
	s_mov_b32 s2, 0x42b17218
	v_ldexp_f32 v42, v42, v43
	v_cndmask_b32_e32 v42, 0, v42, vcc
	v_mov_b32_e32 v43, 0x7f800000
	v_cmp_nlt_f32_e32 vcc, s2, v41
	v_cndmask_b32_e32 v41, v43, v42, vcc
	v_add_f32_e32 v41, 1.0, v41
	v_div_scale_f32 v42, s[2:3], v41, v41, 1.0
	v_rcp_f32_e32 v43, v42
	v_fma_f32 v44, -v42, v43, 1.0
	v_fmac_f32_e32 v43, v44, v43
	v_div_scale_f32 v44, vcc, 1.0, v41, 1.0
	v_mul_f32_e32 v45, v44, v43
	v_fma_f32 v46, -v42, v45, v44
	v_fmac_f32_e32 v45, v46, v43
	v_fma_f32 v42, -v42, v45, v44
	v_div_fmas_f32 v42, v42, v43, v45
	v_div_fixup_f32 v41, v42, v41, 1.0
.LBB11_37:
	s_or_b64 exec, exec, s[0:1]
	v_cmp_o_f16_e32 vcc, v21, v21
	s_and_saveexec_b64 s[0:1], vcc
	s_cbranch_execz .LBB11_39
; %bb.38:
	v_cvt_f32_f16_e64 v20, -v21
	s_mov_b32 s2, 0x3fb8aa3b
	s_mov_b32 s3, 0x32a5705f
	v_mul_f32_e32 v42, 0x3fb8aa3b, v20
	v_rndne_f32_e32 v43, v42
	v_fma_mix_f32 v44, -v21, s2, -v42 op_sel_hi:[1,0,0]
	v_sub_f32_e32 v42, v42, v43
	v_fma_mix_f32 v44, -v21, s3, v44 op_sel_hi:[1,0,0]
	v_add_f32_e32 v42, v42, v44
	v_cvt_i32_f32_e32 v43, v43
	v_exp_f32_e32 v42, v42
	s_mov_b32 s2, 0xc2ce8ed0
	v_cmp_ngt_f32_e32 vcc, s2, v20
	s_mov_b32 s2, 0x42b17218
	v_ldexp_f32 v42, v42, v43
	v_cndmask_b32_e32 v42, 0, v42, vcc
	v_mov_b32_e32 v43, 0x7f800000
	v_cmp_nlt_f32_e32 vcc, s2, v20
	v_cndmask_b32_e32 v20, v43, v42, vcc
	v_add_f32_e32 v20, 1.0, v20
	v_div_scale_f32 v42, s[2:3], v20, v20, 1.0
	v_rcp_f32_e32 v43, v42
	v_fma_f32 v44, -v42, v43, 1.0
	v_fmac_f32_e32 v43, v44, v43
	v_div_scale_f32 v44, vcc, 1.0, v20, 1.0
	v_mul_f32_e32 v45, v44, v43
	v_fma_f32 v46, -v42, v45, v44
	v_fmac_f32_e32 v45, v46, v43
	v_fma_f32 v42, -v42, v45, v44
	v_div_fmas_f32 v42, v42, v43, v45
	v_div_fixup_f32 v20, v42, v20, 1.0
.LBB11_39:
	s_or_b64 exec, exec, s[0:1]
	v_lshrrev_b32_e32 v43, 16, v21
	v_cmp_o_f16_e32 vcc, v43, v43
	v_mov_b32_e32 v42, 0
	v_mov_b32_e32 v21, 0
	s_and_saveexec_b64 s[0:1], vcc
	s_cbranch_execz .LBB11_41
; %bb.40:
	v_cvt_f32_f16_e64 v21, -v43
	s_mov_b32 s2, 0x3fb8aa3b
	s_mov_b32 s3, 0x32a5705f
	v_mul_f32_e32 v44, 0x3fb8aa3b, v21
	v_rndne_f32_e32 v45, v44
	v_fma_mix_f32 v46, -v43, s2, -v44 op_sel_hi:[1,0,0]
	v_sub_f32_e32 v44, v44, v45
	v_fma_mix_f32 v43, -v43, s3, v46 op_sel_hi:[1,0,0]
	v_add_f32_e32 v43, v44, v43
	v_cvt_i32_f32_e32 v44, v45
	v_exp_f32_e32 v43, v43
	s_mov_b32 s2, 0xc2ce8ed0
	v_cmp_ngt_f32_e32 vcc, s2, v21
	s_mov_b32 s2, 0x42b17218
	v_ldexp_f32 v43, v43, v44
	v_cndmask_b32_e32 v43, 0, v43, vcc
	v_mov_b32_e32 v44, 0x7f800000
	v_cmp_nlt_f32_e32 vcc, s2, v21
	v_cndmask_b32_e32 v21, v44, v43, vcc
	v_add_f32_e32 v21, 1.0, v21
	v_div_scale_f32 v43, s[2:3], v21, v21, 1.0
	v_rcp_f32_e32 v44, v43
	v_fma_f32 v45, -v43, v44, 1.0
	v_fmac_f32_e32 v44, v45, v44
	v_div_scale_f32 v45, vcc, 1.0, v21, 1.0
	v_mul_f32_e32 v46, v45, v44
	v_fma_f32 v47, -v43, v46, v45
	v_fmac_f32_e32 v46, v47, v44
	v_fma_f32 v43, -v43, v46, v45
	v_div_fmas_f32 v43, v43, v44, v46
	v_div_fixup_f32 v21, v43, v21, 1.0
.LBB11_41:
	s_or_b64 exec, exec, s[0:1]
	v_cmp_o_f16_e32 vcc, v22, v22
	s_and_saveexec_b64 s[0:1], vcc
	s_cbranch_execz .LBB11_43
; %bb.42:
	v_cvt_f32_f16_e64 v42, -v22
	s_mov_b32 s2, 0x3fb8aa3b
	s_mov_b32 s3, 0x32a5705f
	v_mul_f32_e32 v43, 0x3fb8aa3b, v42
	v_rndne_f32_e32 v44, v43
	v_fma_mix_f32 v45, -v22, s2, -v43 op_sel_hi:[1,0,0]
	v_sub_f32_e32 v43, v43, v44
	v_fma_mix_f32 v45, -v22, s3, v45 op_sel_hi:[1,0,0]
	v_add_f32_e32 v43, v43, v45
	v_cvt_i32_f32_e32 v44, v44
	v_exp_f32_e32 v43, v43
	s_mov_b32 s2, 0xc2ce8ed0
	v_cmp_ngt_f32_e32 vcc, s2, v42
	s_mov_b32 s2, 0x42b17218
	v_ldexp_f32 v43, v43, v44
	v_cndmask_b32_e32 v43, 0, v43, vcc
	v_mov_b32_e32 v44, 0x7f800000
	v_cmp_nlt_f32_e32 vcc, s2, v42
	v_cndmask_b32_e32 v42, v44, v43, vcc
	v_add_f32_e32 v42, 1.0, v42
	v_div_scale_f32 v43, s[2:3], v42, v42, 1.0
	v_rcp_f32_e32 v44, v43
	v_fma_f32 v45, -v43, v44, 1.0
	v_fmac_f32_e32 v44, v45, v44
	v_div_scale_f32 v45, vcc, 1.0, v42, 1.0
	v_mul_f32_e32 v46, v45, v44
	v_fma_f32 v47, -v43, v46, v45
	v_fmac_f32_e32 v46, v47, v44
	v_fma_f32 v43, -v43, v46, v45
	v_div_fmas_f32 v43, v43, v44, v46
	v_div_fixup_f32 v42, v43, v42, 1.0
.LBB11_43:
	s_or_b64 exec, exec, s[0:1]
	v_lshrrev_b32_e32 v44, 16, v22
	v_cmp_o_f16_e32 vcc, v44, v44
	v_mov_b32_e32 v22, 0
	v_mov_b32_e32 v43, 0
	s_and_saveexec_b64 s[0:1], vcc
	s_cbranch_execz .LBB11_45
; %bb.44:
	v_cvt_f32_f16_e64 v43, -v44
	s_mov_b32 s2, 0x3fb8aa3b
	s_mov_b32 s3, 0x32a5705f
	v_mul_f32_e32 v45, 0x3fb8aa3b, v43
	v_rndne_f32_e32 v46, v45
	v_fma_mix_f32 v47, -v44, s2, -v45 op_sel_hi:[1,0,0]
	v_sub_f32_e32 v45, v45, v46
	v_fma_mix_f32 v44, -v44, s3, v47 op_sel_hi:[1,0,0]
	v_add_f32_e32 v44, v45, v44
	v_cvt_i32_f32_e32 v45, v46
	v_exp_f32_e32 v44, v44
	s_mov_b32 s2, 0xc2ce8ed0
	v_cmp_ngt_f32_e32 vcc, s2, v43
	s_mov_b32 s2, 0x42b17218
	v_ldexp_f32 v44, v44, v45
	v_cndmask_b32_e32 v44, 0, v44, vcc
	v_mov_b32_e32 v45, 0x7f800000
	v_cmp_nlt_f32_e32 vcc, s2, v43
	v_cndmask_b32_e32 v43, v45, v44, vcc
	v_add_f32_e32 v43, 1.0, v43
	v_div_scale_f32 v44, s[2:3], v43, v43, 1.0
	v_rcp_f32_e32 v45, v44
	v_fma_f32 v46, -v44, v45, 1.0
	v_fmac_f32_e32 v45, v46, v45
	v_div_scale_f32 v46, vcc, 1.0, v43, 1.0
	v_mul_f32_e32 v47, v46, v45
	v_fma_f32 v48, -v44, v47, v46
	v_fmac_f32_e32 v47, v48, v45
	v_fma_f32 v44, -v44, v47, v46
	v_div_fmas_f32 v44, v44, v45, v47
	v_div_fixup_f32 v43, v44, v43, 1.0
.LBB11_45:
	s_or_b64 exec, exec, s[0:1]
	v_cmp_o_f16_e32 vcc, v23, v23
	s_and_saveexec_b64 s[0:1], vcc
	s_cbranch_execz .LBB11_47
; %bb.46:
	v_cvt_f32_f16_e64 v22, -v23
	s_mov_b32 s2, 0x3fb8aa3b
	s_mov_b32 s3, 0x32a5705f
	v_mul_f32_e32 v44, 0x3fb8aa3b, v22
	v_rndne_f32_e32 v45, v44
	v_fma_mix_f32 v46, -v23, s2, -v44 op_sel_hi:[1,0,0]
	v_sub_f32_e32 v44, v44, v45
	v_fma_mix_f32 v46, -v23, s3, v46 op_sel_hi:[1,0,0]
	v_add_f32_e32 v44, v44, v46
	v_cvt_i32_f32_e32 v45, v45
	v_exp_f32_e32 v44, v44
	s_mov_b32 s2, 0xc2ce8ed0
	v_cmp_ngt_f32_e32 vcc, s2, v22
	s_mov_b32 s2, 0x42b17218
	v_ldexp_f32 v44, v44, v45
	v_cndmask_b32_e32 v44, 0, v44, vcc
	v_mov_b32_e32 v45, 0x7f800000
	v_cmp_nlt_f32_e32 vcc, s2, v22
	v_cndmask_b32_e32 v22, v45, v44, vcc
	v_add_f32_e32 v22, 1.0, v22
	v_div_scale_f32 v44, s[2:3], v22, v22, 1.0
	v_rcp_f32_e32 v45, v44
	v_fma_f32 v46, -v44, v45, 1.0
	v_fmac_f32_e32 v45, v46, v45
	v_div_scale_f32 v46, vcc, 1.0, v22, 1.0
	v_mul_f32_e32 v47, v46, v45
	v_fma_f32 v48, -v44, v47, v46
	v_fmac_f32_e32 v47, v48, v45
	v_fma_f32 v44, -v44, v47, v46
	v_div_fmas_f32 v44, v44, v45, v47
	v_div_fixup_f32 v22, v44, v22, 1.0
.LBB11_47:
	s_or_b64 exec, exec, s[0:1]
	v_lshrrev_b32_e32 v45, 16, v23
	v_cmp_o_f16_e32 vcc, v45, v45
	v_mov_b32_e32 v44, 0
	v_mov_b32_e32 v23, 0
	s_and_saveexec_b64 s[0:1], vcc
	s_cbranch_execz .LBB11_49
; %bb.48:
	v_cvt_f32_f16_e64 v23, -v45
	s_mov_b32 s2, 0x3fb8aa3b
	s_mov_b32 s3, 0x32a5705f
	v_mul_f32_e32 v46, 0x3fb8aa3b, v23
	v_rndne_f32_e32 v47, v46
	v_fma_mix_f32 v48, -v45, s2, -v46 op_sel_hi:[1,0,0]
	v_sub_f32_e32 v46, v46, v47
	v_fma_mix_f32 v45, -v45, s3, v48 op_sel_hi:[1,0,0]
	v_add_f32_e32 v45, v46, v45
	v_cvt_i32_f32_e32 v46, v47
	v_exp_f32_e32 v45, v45
	s_mov_b32 s2, 0xc2ce8ed0
	v_cmp_ngt_f32_e32 vcc, s2, v23
	s_mov_b32 s2, 0x42b17218
	v_ldexp_f32 v45, v45, v46
	v_cndmask_b32_e32 v45, 0, v45, vcc
	v_mov_b32_e32 v46, 0x7f800000
	v_cmp_nlt_f32_e32 vcc, s2, v23
	v_cndmask_b32_e32 v23, v46, v45, vcc
	v_add_f32_e32 v23, 1.0, v23
	v_div_scale_f32 v45, s[2:3], v23, v23, 1.0
	v_rcp_f32_e32 v46, v45
	v_fma_f32 v47, -v45, v46, 1.0
	v_fmac_f32_e32 v46, v47, v46
	v_div_scale_f32 v47, vcc, 1.0, v23, 1.0
	v_mul_f32_e32 v48, v47, v46
	v_fma_f32 v49, -v45, v48, v47
	v_fmac_f32_e32 v48, v49, v46
	v_fma_f32 v45, -v45, v48, v47
	v_div_fmas_f32 v45, v45, v46, v48
	v_div_fixup_f32 v23, v45, v23, 1.0
.LBB11_49:
	s_or_b64 exec, exec, s[0:1]
	v_cmp_o_f16_e32 vcc, v16, v16
	s_and_saveexec_b64 s[0:1], vcc
	s_cbranch_execz .LBB11_51
; %bb.50:
	v_cvt_f32_f16_e64 v44, -v16
	s_mov_b32 s2, 0x3fb8aa3b
	s_mov_b32 s3, 0x32a5705f
	v_mul_f32_e32 v45, 0x3fb8aa3b, v44
	v_rndne_f32_e32 v46, v45
	v_fma_mix_f32 v47, -v16, s2, -v45 op_sel_hi:[1,0,0]
	v_sub_f32_e32 v45, v45, v46
	v_fma_mix_f32 v47, -v16, s3, v47 op_sel_hi:[1,0,0]
	v_add_f32_e32 v45, v45, v47
	v_cvt_i32_f32_e32 v46, v46
	v_exp_f32_e32 v45, v45
	s_mov_b32 s2, 0xc2ce8ed0
	v_cmp_ngt_f32_e32 vcc, s2, v44
	s_mov_b32 s2, 0x42b17218
	v_ldexp_f32 v45, v45, v46
	v_cndmask_b32_e32 v45, 0, v45, vcc
	v_mov_b32_e32 v46, 0x7f800000
	v_cmp_nlt_f32_e32 vcc, s2, v44
	v_cndmask_b32_e32 v44, v46, v45, vcc
	v_add_f32_e32 v44, 1.0, v44
	v_div_scale_f32 v45, s[2:3], v44, v44, 1.0
	v_rcp_f32_e32 v46, v45
	v_fma_f32 v47, -v45, v46, 1.0
	v_fmac_f32_e32 v46, v47, v46
	v_div_scale_f32 v47, vcc, 1.0, v44, 1.0
	v_mul_f32_e32 v48, v47, v46
	v_fma_f32 v49, -v45, v48, v47
	v_fmac_f32_e32 v48, v49, v46
	v_fma_f32 v45, -v45, v48, v47
	v_div_fmas_f32 v45, v45, v46, v48
	v_div_fixup_f32 v44, v45, v44, 1.0
.LBB11_51:
	s_or_b64 exec, exec, s[0:1]
	v_lshrrev_b32_e32 v46, 16, v16
	v_cmp_o_f16_e32 vcc, v46, v46
	v_mov_b32_e32 v16, 0
	v_mov_b32_e32 v45, 0
	s_and_saveexec_b64 s[0:1], vcc
	s_cbranch_execz .LBB11_53
; %bb.52:
	v_cvt_f32_f16_e64 v45, -v46
	s_mov_b32 s2, 0x3fb8aa3b
	s_mov_b32 s3, 0x32a5705f
	v_mul_f32_e32 v47, 0x3fb8aa3b, v45
	v_rndne_f32_e32 v48, v47
	v_fma_mix_f32 v49, -v46, s2, -v47 op_sel_hi:[1,0,0]
	v_sub_f32_e32 v47, v47, v48
	v_fma_mix_f32 v46, -v46, s3, v49 op_sel_hi:[1,0,0]
	v_add_f32_e32 v46, v47, v46
	v_cvt_i32_f32_e32 v47, v48
	v_exp_f32_e32 v46, v46
	s_mov_b32 s2, 0xc2ce8ed0
	v_cmp_ngt_f32_e32 vcc, s2, v45
	s_mov_b32 s2, 0x42b17218
	v_ldexp_f32 v46, v46, v47
	v_cndmask_b32_e32 v46, 0, v46, vcc
	v_mov_b32_e32 v47, 0x7f800000
	v_cmp_nlt_f32_e32 vcc, s2, v45
	v_cndmask_b32_e32 v45, v47, v46, vcc
	v_add_f32_e32 v45, 1.0, v45
	v_div_scale_f32 v46, s[2:3], v45, v45, 1.0
	v_rcp_f32_e32 v47, v46
	v_fma_f32 v48, -v46, v47, 1.0
	v_fmac_f32_e32 v47, v48, v47
	v_div_scale_f32 v48, vcc, 1.0, v45, 1.0
	v_mul_f32_e32 v49, v48, v47
	v_fma_f32 v50, -v46, v49, v48
	v_fmac_f32_e32 v49, v50, v47
	v_fma_f32 v46, -v46, v49, v48
	v_div_fmas_f32 v46, v46, v47, v49
	v_div_fixup_f32 v45, v46, v45, 1.0
.LBB11_53:
	s_or_b64 exec, exec, s[0:1]
	v_cmp_o_f16_e32 vcc, v17, v17
	s_and_saveexec_b64 s[0:1], vcc
	s_cbranch_execz .LBB11_55
; %bb.54:
	v_cvt_f32_f16_e64 v16, -v17
	s_mov_b32 s2, 0x3fb8aa3b
	s_mov_b32 s3, 0x32a5705f
	v_mul_f32_e32 v46, 0x3fb8aa3b, v16
	v_rndne_f32_e32 v47, v46
	v_fma_mix_f32 v48, -v17, s2, -v46 op_sel_hi:[1,0,0]
	v_sub_f32_e32 v46, v46, v47
	v_fma_mix_f32 v48, -v17, s3, v48 op_sel_hi:[1,0,0]
	v_add_f32_e32 v46, v46, v48
	v_cvt_i32_f32_e32 v47, v47
	v_exp_f32_e32 v46, v46
	s_mov_b32 s2, 0xc2ce8ed0
	v_cmp_ngt_f32_e32 vcc, s2, v16
	s_mov_b32 s2, 0x42b17218
	v_ldexp_f32 v46, v46, v47
	v_cndmask_b32_e32 v46, 0, v46, vcc
	v_mov_b32_e32 v47, 0x7f800000
	v_cmp_nlt_f32_e32 vcc, s2, v16
	v_cndmask_b32_e32 v16, v47, v46, vcc
	v_add_f32_e32 v16, 1.0, v16
	v_div_scale_f32 v46, s[2:3], v16, v16, 1.0
	v_rcp_f32_e32 v47, v46
	v_fma_f32 v48, -v46, v47, 1.0
	v_fmac_f32_e32 v47, v48, v47
	v_div_scale_f32 v48, vcc, 1.0, v16, 1.0
	v_mul_f32_e32 v49, v48, v47
	v_fma_f32 v50, -v46, v49, v48
	v_fmac_f32_e32 v49, v50, v47
	v_fma_f32 v46, -v46, v49, v48
	v_div_fmas_f32 v46, v46, v47, v49
	v_div_fixup_f32 v16, v46, v16, 1.0
.LBB11_55:
	s_or_b64 exec, exec, s[0:1]
	v_lshrrev_b32_e32 v47, 16, v17
	v_cmp_o_f16_e32 vcc, v47, v47
	v_mov_b32_e32 v46, 0
	v_mov_b32_e32 v17, 0
	s_and_saveexec_b64 s[0:1], vcc
	s_cbranch_execz .LBB11_57
; %bb.56:
	v_cvt_f32_f16_e64 v17, -v47
	s_mov_b32 s2, 0x3fb8aa3b
	s_mov_b32 s3, 0x32a5705f
	v_mul_f32_e32 v48, 0x3fb8aa3b, v17
	v_rndne_f32_e32 v49, v48
	v_fma_mix_f32 v50, -v47, s2, -v48 op_sel_hi:[1,0,0]
	v_sub_f32_e32 v48, v48, v49
	v_fma_mix_f32 v47, -v47, s3, v50 op_sel_hi:[1,0,0]
	v_add_f32_e32 v47, v48, v47
	v_cvt_i32_f32_e32 v48, v49
	v_exp_f32_e32 v47, v47
	s_mov_b32 s2, 0xc2ce8ed0
	v_cmp_ngt_f32_e32 vcc, s2, v17
	s_mov_b32 s2, 0x42b17218
	v_ldexp_f32 v47, v47, v48
	v_cndmask_b32_e32 v47, 0, v47, vcc
	v_mov_b32_e32 v48, 0x7f800000
	v_cmp_nlt_f32_e32 vcc, s2, v17
	v_cndmask_b32_e32 v17, v48, v47, vcc
	v_add_f32_e32 v17, 1.0, v17
	v_div_scale_f32 v47, s[2:3], v17, v17, 1.0
	v_rcp_f32_e32 v48, v47
	v_fma_f32 v49, -v47, v48, 1.0
	v_fmac_f32_e32 v48, v49, v48
	v_div_scale_f32 v49, vcc, 1.0, v17, 1.0
	v_mul_f32_e32 v50, v49, v48
	v_fma_f32 v51, -v47, v50, v49
	v_fmac_f32_e32 v50, v51, v48
	v_fma_f32 v47, -v47, v50, v49
	v_div_fmas_f32 v47, v47, v48, v50
	v_div_fixup_f32 v17, v47, v17, 1.0
.LBB11_57:
	s_or_b64 exec, exec, s[0:1]
	v_cmp_o_f16_e32 vcc, v18, v18
	s_and_saveexec_b64 s[0:1], vcc
	s_cbranch_execz .LBB11_59
; %bb.58:
	v_cvt_f32_f16_e64 v46, -v18
	s_mov_b32 s2, 0x3fb8aa3b
	s_mov_b32 s3, 0x32a5705f
	v_mul_f32_e32 v47, 0x3fb8aa3b, v46
	v_rndne_f32_e32 v48, v47
	v_fma_mix_f32 v49, -v18, s2, -v47 op_sel_hi:[1,0,0]
	v_sub_f32_e32 v47, v47, v48
	v_fma_mix_f32 v49, -v18, s3, v49 op_sel_hi:[1,0,0]
	v_add_f32_e32 v47, v47, v49
	v_cvt_i32_f32_e32 v48, v48
	v_exp_f32_e32 v47, v47
	s_mov_b32 s2, 0xc2ce8ed0
	v_cmp_ngt_f32_e32 vcc, s2, v46
	s_mov_b32 s2, 0x42b17218
	v_ldexp_f32 v47, v47, v48
	v_cndmask_b32_e32 v47, 0, v47, vcc
	v_mov_b32_e32 v48, 0x7f800000
	v_cmp_nlt_f32_e32 vcc, s2, v46
	v_cndmask_b32_e32 v46, v48, v47, vcc
	v_add_f32_e32 v46, 1.0, v46
	v_div_scale_f32 v47, s[2:3], v46, v46, 1.0
	v_rcp_f32_e32 v48, v47
	v_fma_f32 v49, -v47, v48, 1.0
	v_fmac_f32_e32 v48, v49, v48
	v_div_scale_f32 v49, vcc, 1.0, v46, 1.0
	v_mul_f32_e32 v50, v49, v48
	v_fma_f32 v51, -v47, v50, v49
	v_fmac_f32_e32 v50, v51, v48
	v_fma_f32 v47, -v47, v50, v49
	v_div_fmas_f32 v47, v47, v48, v50
	v_div_fixup_f32 v46, v47, v46, 1.0
.LBB11_59:
	s_or_b64 exec, exec, s[0:1]
	v_lshrrev_b32_e32 v48, 16, v18
	v_cmp_o_f16_e32 vcc, v48, v48
	v_mov_b32_e32 v18, 0
	v_mov_b32_e32 v47, 0
	s_and_saveexec_b64 s[0:1], vcc
	s_cbranch_execz .LBB11_61
; %bb.60:
	v_cvt_f32_f16_e64 v47, -v48
	s_mov_b32 s2, 0x3fb8aa3b
	s_mov_b32 s3, 0x32a5705f
	v_mul_f32_e32 v49, 0x3fb8aa3b, v47
	v_rndne_f32_e32 v50, v49
	v_fma_mix_f32 v51, -v48, s2, -v49 op_sel_hi:[1,0,0]
	v_sub_f32_e32 v49, v49, v50
	v_fma_mix_f32 v48, -v48, s3, v51 op_sel_hi:[1,0,0]
	v_add_f32_e32 v48, v49, v48
	v_cvt_i32_f32_e32 v49, v50
	v_exp_f32_e32 v48, v48
	s_mov_b32 s2, 0xc2ce8ed0
	v_cmp_ngt_f32_e32 vcc, s2, v47
	s_mov_b32 s2, 0x42b17218
	v_ldexp_f32 v48, v48, v49
	v_cndmask_b32_e32 v48, 0, v48, vcc
	v_mov_b32_e32 v49, 0x7f800000
	v_cmp_nlt_f32_e32 vcc, s2, v47
	v_cndmask_b32_e32 v47, v49, v48, vcc
	v_add_f32_e32 v47, 1.0, v47
	v_div_scale_f32 v48, s[2:3], v47, v47, 1.0
	v_rcp_f32_e32 v49, v48
	v_fma_f32 v50, -v48, v49, 1.0
	v_fmac_f32_e32 v49, v50, v49
	v_div_scale_f32 v50, vcc, 1.0, v47, 1.0
	v_mul_f32_e32 v51, v50, v49
	v_fma_f32 v52, -v48, v51, v50
	v_fmac_f32_e32 v51, v52, v49
	v_fma_f32 v48, -v48, v51, v50
	v_div_fmas_f32 v48, v48, v49, v51
	v_div_fixup_f32 v47, v48, v47, 1.0
.LBB11_61:
	s_or_b64 exec, exec, s[0:1]
	v_cmp_o_f16_e32 vcc, v19, v19
	s_and_saveexec_b64 s[0:1], vcc
	s_cbranch_execz .LBB11_63
; %bb.62:
	v_cvt_f32_f16_e64 v18, -v19
	s_mov_b32 s2, 0x3fb8aa3b
	s_mov_b32 s3, 0x32a5705f
	v_mul_f32_e32 v48, 0x3fb8aa3b, v18
	v_rndne_f32_e32 v49, v48
	v_fma_mix_f32 v50, -v19, s2, -v48 op_sel_hi:[1,0,0]
	v_sub_f32_e32 v48, v48, v49
	v_fma_mix_f32 v50, -v19, s3, v50 op_sel_hi:[1,0,0]
	v_add_f32_e32 v48, v48, v50
	v_cvt_i32_f32_e32 v49, v49
	v_exp_f32_e32 v48, v48
	s_mov_b32 s2, 0xc2ce8ed0
	v_cmp_ngt_f32_e32 vcc, s2, v18
	s_mov_b32 s2, 0x42b17218
	v_ldexp_f32 v48, v48, v49
	v_cndmask_b32_e32 v48, 0, v48, vcc
	v_mov_b32_e32 v49, 0x7f800000
	v_cmp_nlt_f32_e32 vcc, s2, v18
	v_cndmask_b32_e32 v18, v49, v48, vcc
	v_add_f32_e32 v18, 1.0, v18
	v_div_scale_f32 v48, s[2:3], v18, v18, 1.0
	v_rcp_f32_e32 v49, v48
	v_fma_f32 v50, -v48, v49, 1.0
	v_fmac_f32_e32 v49, v50, v49
	v_div_scale_f32 v50, vcc, 1.0, v18, 1.0
	v_mul_f32_e32 v51, v50, v49
	v_fma_f32 v52, -v48, v51, v50
	v_fmac_f32_e32 v51, v52, v49
	v_fma_f32 v48, -v48, v51, v50
	v_div_fmas_f32 v48, v48, v49, v51
	v_div_fixup_f32 v18, v48, v18, 1.0
.LBB11_63:
	s_or_b64 exec, exec, s[0:1]
	v_lshrrev_b32_e32 v48, 16, v19
	v_cmp_o_f16_e32 vcc, v48, v48
	v_mov_b32_e32 v19, 0
	s_and_saveexec_b64 s[0:1], vcc
	s_cbranch_execz .LBB11_65
; %bb.64:
	v_cvt_f32_f16_e64 v19, -v48
	s_mov_b32 s2, 0x3fb8aa3b
	s_mov_b32 s3, 0x32a5705f
	v_mul_f32_e32 v49, 0x3fb8aa3b, v19
	v_rndne_f32_e32 v50, v49
	v_fma_mix_f32 v51, -v48, s2, -v49 op_sel_hi:[1,0,0]
	v_sub_f32_e32 v49, v49, v50
	v_fma_mix_f32 v48, -v48, s3, v51 op_sel_hi:[1,0,0]
	v_add_f32_e32 v48, v49, v48
	v_cvt_i32_f32_e32 v49, v50
	v_exp_f32_e32 v48, v48
	s_mov_b32 s2, 0xc2ce8ed0
	v_cmp_ngt_f32_e32 vcc, s2, v19
	s_mov_b32 s2, 0x42b17218
	v_ldexp_f32 v48, v48, v49
	v_cndmask_b32_e32 v48, 0, v48, vcc
	v_mov_b32_e32 v49, 0x7f800000
	v_cmp_nlt_f32_e32 vcc, s2, v19
	v_cndmask_b32_e32 v19, v49, v48, vcc
	v_add_f32_e32 v19, 1.0, v19
	v_div_scale_f32 v48, s[2:3], v19, v19, 1.0
	v_rcp_f32_e32 v49, v48
	v_fma_f32 v50, -v48, v49, 1.0
	v_fmac_f32_e32 v49, v50, v49
	v_div_scale_f32 v50, vcc, 1.0, v19, 1.0
	v_mul_f32_e32 v51, v50, v49
	v_fma_f32 v52, -v48, v51, v50
	v_fmac_f32_e32 v51, v52, v49
	v_fma_f32 v48, -v48, v51, v50
	v_div_fmas_f32 v48, v48, v49, v51
	v_div_fixup_f32 v19, v48, v19, 1.0
.LBB11_65:
	s_or_b64 exec, exec, s[0:1]
	s_waitcnt vmcnt(0)
	v_cvt_f32_f16_e32 v48, v12
	v_cvt_f32_f16_sdwa v12, v12 dst_sel:DWORD dst_unused:UNUSED_PAD src0_sel:WORD_1
	s_mov_b32 s2, 0xff7fffff
	v_add_f32_e32 v71, v69, v48
	v_add_f32_e32 v72, v70, v12
	v_max_f32_e32 v12, 0xff7fffff, v71
	v_cmp_ngt_f32_e32 vcc, v72, v12
	v_mov_b32_e32 v48, v12
	v_mov_b32_e32 v49, v72
	s_and_saveexec_b64 s[0:1], vcc
	s_cbranch_execz .LBB11_69
; %bb.66:
	v_cmp_lt_f32_e32 vcc, s2, v72
	v_mov_b32_e32 v48, 0xff7fffff
	s_and_saveexec_b64 s[2:3], vcc
; %bb.67:
	v_mov_b32_e32 v48, v72
; %bb.68:
	s_or_b64 exec, exec, s[2:3]
	v_mov_b32_e32 v49, v12
.LBB11_69:
	s_or_b64 exec, exec, s[0:1]
	v_cvt_f32_f16_sdwa v51, v13 dst_sel:DWORD dst_unused:UNUSED_PAD src0_sel:WORD_1
	v_cvt_f32_f16_e32 v50, v13
	v_mov_b32_e32 v52, v49
	v_pk_add_f32 v[12:13], v[28:29], v[50:51]
	v_cmp_ngt_f32_e32 vcc, v12, v49
	v_mov_b32_e32 v53, v12
	s_and_saveexec_b64 s[0:1], vcc
	s_cbranch_execz .LBB11_73
; %bb.70:
	v_cmp_gt_f32_e32 vcc, v12, v48
	s_and_saveexec_b64 s[2:3], vcc
; %bb.71:
	v_mov_b32_e32 v48, v12
; %bb.72:
	s_or_b64 exec, exec, s[2:3]
	v_mov_b32_e32 v52, v48
	v_mov_b32_e32 v53, v49
.LBB11_73:
	s_or_b64 exec, exec, s[0:1]
	v_cmp_ngt_f32_e32 vcc, v13, v53
	v_mov_b32_e32 v51, v53
	v_mov_b32_e32 v50, v13
	s_and_saveexec_b64 s[0:1], vcc
	s_cbranch_execz .LBB11_77
; %bb.74:
	v_cmp_gt_f32_e32 vcc, v13, v52
	s_and_saveexec_b64 s[2:3], vcc
; %bb.75:
	v_mov_b32_e32 v52, v13
; %bb.76:
	s_or_b64 exec, exec, s[2:3]
	v_mov_b32_e32 v51, v52
	v_mov_b32_e32 v50, v53
.LBB11_77:
	s_or_b64 exec, exec, s[0:1]
	v_cvt_f32_f16_sdwa v49, v14 dst_sel:DWORD dst_unused:UNUSED_PAD src0_sel:WORD_1
	v_cvt_f32_f16_e32 v48, v14
	v_mov_b32_e32 v14, v50
	v_pk_add_f32 v[48:49], v[34:35], v[48:49]
	v_cmp_ngt_f32_e32 vcc, v48, v50
	v_mov_b32_e32 v52, v48
	s_and_saveexec_b64 s[0:1], vcc
	s_cbranch_execz .LBB11_81
; %bb.78:
	v_cmp_gt_f32_e32 vcc, v48, v51
	s_and_saveexec_b64 s[2:3], vcc
; %bb.79:
	v_mov_b32_e32 v51, v48
; %bb.80:
	s_or_b64 exec, exec, s[2:3]
	v_mov_b32_e32 v14, v51
	v_mov_b32_e32 v52, v50
.LBB11_81:
	s_or_b64 exec, exec, s[0:1]
	v_cmp_ngt_f32_e32 vcc, v49, v52
	v_mov_b32_e32 v51, v52
	v_mov_b32_e32 v50, v49
	s_and_saveexec_b64 s[0:1], vcc
	s_cbranch_execz .LBB11_85
; %bb.82:
	v_cmp_gt_f32_e32 vcc, v49, v14
	s_and_saveexec_b64 s[2:3], vcc
; %bb.83:
	v_mov_b32_e32 v14, v49
; %bb.84:
	s_or_b64 exec, exec, s[2:3]
	v_mov_b32_e32 v51, v14
	v_mov_b32_e32 v50, v52
.LBB11_85:
	;; [unrolled: 35-line block ×15, first 2 shown]
	s_or_b64 exec, exec, s[0:1]
	v_cmp_lt_i64_e64 s[0:1], s[74:75], 4
	v_lshlrev_b32_e32 v74, 5, v68
	s_and_b64 vcc, exec, s[0:1]
	s_cbranch_vccz .LBB11_192
; %bb.190:
	s_sub_u32 s6, 4, s74
	s_subb_u32 s7, 0, s75
	v_add_f32_e32 v6, v6, v7
	s_mov_b64 s[8:9], 0
	v_mov_b32_e32 v7, 0x7f7fffff
.LBB11_191:                             ; =>This Inner Loop Header: Depth=1
	v_mov_b32_dpp v65, v74 quad_perm:[1,0,3,2] row_mask:0xf bank_mask:0xf
	v_mov_b32_dpp v66, v6 quad_perm:[1,0,3,2] row_mask:0xf bank_mask:0xf
	v_cmp_eq_f32_e64 s[0:1], v6, v66
	v_cmp_lt_i32_e64 s[2:3], v74, v65
	v_cmp_lt_f32_e32 vcc, v6, v66
	s_and_b64 s[0:1], s[2:3], s[0:1]
	s_or_b64 vcc, vcc, s[0:1]
	v_cndmask_b32_e32 v66, v66, v6, vcc
	v_cndmask_b32_e32 v65, v65, v74, vcc
	s_add_u32 s8, s8, 1
	v_mov_b32_dpp v73, v66 quad_perm:[2,3,0,1] row_mask:0xf bank_mask:0xf
	v_mov_b32_dpp v67, v65 quad_perm:[2,3,0,1] row_mask:0xf bank_mask:0xf
	v_min_i32_e32 v75, v65, v67
	v_cmp_eq_f32_e32 vcc, v66, v73
	v_cndmask_b32_e32 v67, v67, v75, vcc
	v_cmp_lt_f32_e32 vcc, v66, v73
	v_cndmask_b32_e32 v65, v67, v65, vcc
	v_ashrrev_i32_e32 v66, 31, v65
	v_lshrrev_b32_e32 v66, 27, v66
	v_add_u32_e32 v65, v65, v66
	v_ashrrev_i32_e32 v65, 5, v65
	s_addc_u32 s9, s9, 0
	v_cmp_eq_u32_e32 vcc, v68, v65
	v_pk_mov_b32 v[66:67], s[8:9], s[8:9] op_sel:[0,1]
	v_cndmask_b32_e32 v71, v71, v7, vcc
	v_cndmask_b32_e32 v6, v6, v7, vcc
	v_cmp_le_i64_e32 vcc, s[6:7], v[66:67]
	s_cbranch_vccz .LBB11_191
.LBB11_192:
	s_sub_u32 s72, s76, s78
	s_subb_u32 s73, s77, s79
	s_mov_b64 s[0:1], src_shared_base
	s_cmp_lg_u32 0, -1
	s_cselect_b32 s0, s1, 0
	s_cselect_b32 s1, 0, 0
	s_add_u32 s1, s1, 0xff
	s_addc_u32 s0, s0, 0
	s_and_b32 s1, s1, 0xffffff00
	v_mov_b32_e32 v6, s1
	v_mov_b32_e32 v7, s0
	v_and_b32_e32 v65, 0x3fc, v64
	v_mad_u64_u32 v[6:7], s[0:1], v65, s76, v[6:7]
	s_load_dword s33, s[4:5], 0x48
	v_mov_b32_e32 v64, v7
	v_mad_u64_u32 v[64:65], s[0:1], v65, s77, v[64:65]
	v_cmp_lt_i64_e64 s[0:1], s[72:73], 1
	v_mov_b32_e32 v7, v64
	s_and_b64 vcc, exec, s[0:1]
	v_cmp_eq_u32_e64 s[0:1], 0, v68
	s_cbranch_vccnz .LBB11_203
; %bb.193:
	s_waitcnt lgkmcnt(0)
	v_mad_u64_u32 v[64:65], s[2:3], s33, v32, 0
	s_ashr_i32 s6, s33, 31
	v_mov_b32_e32 v66, v65
	v_mad_u64_u32 v[66:67], s[2:3], s6, v32, v[66:67]
	v_mov_b32_e32 v65, v66
	v_lshlrev_b64 v[64:65], 2, v[64:65]
	v_mov_b32_e32 v66, s71
	v_add_co_u32_e32 v64, vcc, s70, v64
	v_addc_co_u32_e32 v65, vcc, v66, v65, vcc
	v_mul_u32_u24_e32 v75, 32, v68
	s_mov_b64 s[74:75], 0
	v_mov_b32_e32 v73, 0
	s_mov_b32 s84, 0x7f7fffff
	v_mov_b32_e32 v76, 0xff7fffff
	v_pk_mov_b32 v[66:67], v[6:7], v[6:7] op_sel:[0,1]
	s_branch .LBB11_195
.LBB11_194:                             ;   in Loop: Header=BB11_195 Depth=1
	s_or_b64 exec, exec, s[2:3]
	v_add_co_u32_e32 v64, vcc, 4, v64
	s_add_u32 s74, s74, 1
	v_addc_co_u32_e32 v65, vcc, 0, v65, vcc
	s_addc_u32 s75, s75, 0
	v_add_co_u32_e32 v66, vcc, 4, v66
	v_addc_co_u32_e32 v67, vcc, 0, v67, vcc
	v_pk_mov_b32 v[78:79], s[74:75], s[74:75] op_sel:[0,1]
	v_cmp_le_i64_e32 vcc, s[72:73], v[78:79]
	s_cbranch_vccnz .LBB11_204
.LBB11_195:                             ; =>This Inner Loop Header: Depth=1
	v_cmp_neq_f32_e32 vcc, s84, v71
	v_mov_b32_e32 v77, 0xff7fffff
	v_mov_b32_e32 v78, v74
	s_and_saveexec_b64 s[2:3], vcc
	s_cbranch_execz .LBB11_197
; %bb.196:                              ;   in Loop: Header=BB11_195 Depth=1
	v_cmp_gt_f32_e32 vcc, v72, v71
	v_cndmask_b32_e32 v77, v71, v72, vcc
	v_cndmask_b32_e64 v78, 0, 1, vcc
	v_cmp_gt_f32_e32 vcc, v12, v77
	v_cndmask_b32_e32 v77, v77, v12, vcc
	v_cndmask_b32_e64 v78, v78, 2, vcc
	v_cmp_gt_f32_e32 vcc, v13, v77
	v_cndmask_b32_e32 v77, v77, v13, vcc
	v_cndmask_b32_e64 v78, v78, 3, vcc
	v_cmp_gt_f32_e32 vcc, v48, v77
	v_cndmask_b32_e32 v77, v77, v48, vcc
	v_cndmask_b32_e64 v78, v78, 4, vcc
	v_cmp_gt_f32_e32 vcc, v49, v77
	v_cndmask_b32_e32 v77, v77, v49, vcc
	v_cndmask_b32_e64 v78, v78, 5, vcc
	v_cmp_gt_f32_e32 vcc, v14, v77
	v_cndmask_b32_e32 v77, v77, v14, vcc
	v_cndmask_b32_e64 v78, v78, 6, vcc
	v_cmp_gt_f32_e32 vcc, v15, v77
	v_cndmask_b32_e32 v77, v77, v15, vcc
	v_cndmask_b32_e64 v78, v78, 7, vcc
	v_cmp_gt_f32_e32 vcc, v50, v77
	v_cndmask_b32_e32 v77, v77, v50, vcc
	v_cndmask_b32_e64 v78, v78, 8, vcc
	v_cmp_gt_f32_e32 vcc, v51, v77
	v_cndmask_b32_e32 v77, v77, v51, vcc
	v_cndmask_b32_e64 v78, v78, 9, vcc
	v_cmp_gt_f32_e32 vcc, v8, v77
	v_cndmask_b32_e32 v77, v77, v8, vcc
	v_cndmask_b32_e64 v78, v78, 10, vcc
	v_cmp_gt_f32_e32 vcc, v9, v77
	v_cndmask_b32_e32 v77, v77, v9, vcc
	v_cndmask_b32_e64 v78, v78, 11, vcc
	v_cmp_gt_f32_e32 vcc, v52, v77
	v_cndmask_b32_e32 v77, v77, v52, vcc
	v_cndmask_b32_e64 v78, v78, 12, vcc
	v_cmp_gt_f32_e32 vcc, v53, v77
	v_cndmask_b32_e32 v77, v77, v53, vcc
	v_cndmask_b32_e64 v78, v78, 13, vcc
	v_cmp_gt_f32_e32 vcc, v10, v77
	v_cndmask_b32_e32 v77, v77, v10, vcc
	v_cndmask_b32_e64 v78, v78, 14, vcc
	v_cmp_gt_f32_e32 vcc, v11, v77
	v_cndmask_b32_e32 v77, v77, v11, vcc
	v_cndmask_b32_e64 v78, v78, 15, vcc
	v_cmp_gt_f32_e32 vcc, v54, v77
	v_cndmask_b32_e32 v77, v77, v54, vcc
	v_cndmask_b32_e64 v78, v78, 16, vcc
	v_cmp_gt_f32_e32 vcc, v55, v77
	v_cndmask_b32_e32 v77, v77, v55, vcc
	v_cndmask_b32_e64 v78, v78, 17, vcc
	v_cmp_gt_f32_e32 vcc, v4, v77
	v_cndmask_b32_e32 v77, v77, v4, vcc
	v_cndmask_b32_e64 v78, v78, 18, vcc
	v_cmp_gt_f32_e32 vcc, v5, v77
	v_cndmask_b32_e32 v77, v77, v5, vcc
	v_cndmask_b32_e64 v78, v78, 19, vcc
	v_cmp_gt_f32_e32 vcc, v56, v77
	v_cndmask_b32_e32 v77, v77, v56, vcc
	v_cndmask_b32_e64 v78, v78, 20, vcc
	v_cmp_gt_f32_e32 vcc, v57, v77
	v_cndmask_b32_e32 v77, v77, v57, vcc
	v_cndmask_b32_e64 v78, v78, 21, vcc
	v_cmp_gt_f32_e32 vcc, v58, v77
	v_cndmask_b32_e32 v77, v77, v58, vcc
	v_cndmask_b32_e64 v78, v78, 22, vcc
	v_cmp_gt_f32_e32 vcc, v59, v77
	v_cndmask_b32_e32 v77, v77, v59, vcc
	v_cndmask_b32_e64 v78, v78, 23, vcc
	v_cmp_gt_f32_e32 vcc, v60, v77
	v_cndmask_b32_e32 v77, v77, v60, vcc
	v_cndmask_b32_e64 v78, v78, 24, vcc
	v_cmp_gt_f32_e32 vcc, v61, v77
	v_cndmask_b32_e32 v77, v77, v61, vcc
	v_cndmask_b32_e64 v78, v78, 25, vcc
	v_cmp_gt_f32_e32 vcc, v0, v77
	v_cndmask_b32_e32 v77, v77, v0, vcc
	v_cndmask_b32_e64 v78, v78, 26, vcc
	v_cmp_gt_f32_e32 vcc, v1, v77
	v_cndmask_b32_e32 v77, v77, v1, vcc
	v_cndmask_b32_e64 v78, v78, 27, vcc
	v_cmp_gt_f32_e32 vcc, v62, v77
	v_cndmask_b32_e32 v77, v77, v62, vcc
	v_cndmask_b32_e64 v78, v78, 28, vcc
	v_cmp_gt_f32_e32 vcc, v63, v77
	v_cndmask_b32_e32 v77, v77, v63, vcc
	v_cndmask_b32_e64 v78, v78, 29, vcc
	v_cmp_gt_f32_e32 vcc, v2, v77
	v_cndmask_b32_e32 v77, v77, v2, vcc
	v_cndmask_b32_e64 v78, v78, 30, vcc
	v_cmp_gt_f32_e32 vcc, v3, v77
	v_cndmask_b32_e64 v78, v78, 31, vcc
	v_cndmask_b32_e32 v77, v77, v3, vcc
	v_or_b32_e32 v78, v78, v74
.LBB11_197:                             ;   in Loop: Header=BB11_195 Depth=1
	s_or_b64 exec, exec, s[2:3]
	s_nop 0
	v_mov_b32_dpp v79, v78 quad_perm:[1,0,3,2] row_mask:0xf bank_mask:0xf
	v_mov_b32_dpp v80, v77 quad_perm:[1,0,3,2] row_mask:0xf bank_mask:0xf
	v_cmp_eq_f32_e64 s[2:3], v77, v80
	v_cmp_lt_i32_e64 s[6:7], v78, v79
	v_cmp_gt_f32_e32 vcc, v77, v80
	s_and_b64 s[2:3], s[2:3], s[6:7]
	s_or_b64 vcc, vcc, s[2:3]
	v_cndmask_b32_e32 v77, v80, v77, vcc
	v_cndmask_b32_e32 v78, v79, v78, vcc
	s_nop 0
	v_mov_b32_dpp v80, v77 quad_perm:[2,3,0,1] row_mask:0xf bank_mask:0xf
	v_mov_b32_dpp v79, v78 quad_perm:[2,3,0,1] row_mask:0xf bank_mask:0xf
	v_min_i32_e32 v81, v78, v79
	v_cmp_eq_f32_e32 vcc, v77, v80
	v_cndmask_b32_e32 v79, v79, v81, vcc
	v_cmp_gt_f32_e32 vcc, v77, v80
	v_cndmask_b32_e32 v77, v79, v78, vcc
	v_ashrrev_i32_e32 v78, 31, v77
	v_lshrrev_b32_e32 v78, 27, v78
	v_add_u32_e32 v78, v77, v78
	v_ashrrev_i32_e32 v78, 5, v78
	v_cmp_eq_u32_e32 vcc, v68, v78
	s_and_saveexec_b64 s[80:81], vcc
	s_cbranch_execz .LBB11_201
; %bb.198:                              ;   in Loop: Header=BB11_195 Depth=1
	v_sub_u32_e32 v78, v77, v75
	v_cmp_eq_u32_e64 s[60:61], 1, v78
	v_cmp_eq_u32_e64 s[62:63], 3, v78
	;; [unrolled: 1-line block ×29, first 2 shown]
	v_cmp_eq_u32_e32 vcc, 31, v78
	v_cmp_eq_u32_e64 s[2:3], 30, v78
	v_cmp_gt_u32_e64 s[66:67], 32, v78
	s_and_saveexec_b64 s[82:83], s[66:67]
	s_cbranch_execz .LBB11_200
; %bb.199:                              ;   in Loop: Header=BB11_195 Depth=1
	v_cndmask_b32_e64 v79, v69, v70, s[60:61]
	v_cndmask_b32_e64 v79, v79, v28, s[64:65]
	;; [unrolled: 1-line block ×30, first 2 shown]
	v_cndmask_b32_e32 v79, v79, v19, vcc
	flat_store_dword v[66:67], v79
.LBB11_200:                             ;   in Loop: Header=BB11_195 Depth=1
	s_or_b64 exec, exec, s[82:83]
	v_cmp_ne_u32_e64 s[66:67], 0, v78
	v_cndmask_b32_e64 v71, v76, v71, s[66:67]
	v_cndmask_b32_e64 v72, v72, v76, s[60:61]
	;; [unrolled: 1-line block ×30, first 2 shown]
	v_cndmask_b32_e32 v3, v3, v76, vcc
	v_cndmask_b32_e64 v2, v2, v76, s[2:3]
	global_store_dword v[64:65], v77, off
.LBB11_201:                             ;   in Loop: Header=BB11_195 Depth=1
	s_or_b64 exec, exec, s[80:81]
	s_waitcnt lgkmcnt(0)
	s_barrier
	s_and_saveexec_b64 s[2:3], s[0:1]
	s_cbranch_execz .LBB11_194
; %bb.202:                              ;   in Loop: Header=BB11_195 Depth=1
	flat_load_dword v77, v[66:67]
	s_waitcnt vmcnt(0) lgkmcnt(0)
	v_add_f32_e32 v73, v73, v77
	s_branch .LBB11_194
.LBB11_203:
	v_mov_b32_e32 v73, 0
.LBB11_204:
	v_cmp_eq_u32_e64 s[0:1], 0, v68
	v_cmp_gt_i64_e64 s[2:3], s[78:79], 0
	s_and_b64 s[6:7], s[0:1], s[2:3]
	s_and_saveexec_b64 s[2:3], s[6:7]
	s_cbranch_execz .LBB11_217
; %bb.205:
	v_cmp_le_u64_e32 vcc, s[78:79], v[32:33]
	v_pk_mov_b32 v[0:1], v[32:33], v[32:33] op_sel:[0,1]
	s_and_saveexec_b64 s[6:7], vcc
	s_cbranch_execz .LBB11_207
; %bb.206:
	v_cvt_f32_u32_e32 v0, s78
	s_sub_i32 s8, 0, s78
	v_rcp_iflag_f32_e32 v0, v0
	v_mul_f32_e32 v0, 0x4f7ffffe, v0
	v_cvt_u32_f32_e32 v0, v0
	v_mul_lo_u32 v1, s8, v0
	v_mul_hi_u32 v1, v0, v1
	v_add_u32_e32 v0, v0, v1
	v_mul_hi_u32 v0, v32, v0
	v_mul_lo_u32 v0, v0, s78
	v_sub_u32_e32 v0, v32, v0
	v_subrev_u32_e32 v1, s78, v0
	v_cmp_le_u32_e32 vcc, s78, v0
	v_cndmask_b32_e32 v0, v0, v1, vcc
	v_subrev_u32_e32 v1, s78, v0
	v_cmp_le_u32_e32 vcc, s78, v0
	v_cndmask_b32_e32 v0, v0, v1, vcc
	v_mov_b32_e32 v1, 0
.LBB11_207:
	s_or_b64 exec, exec, s[6:7]
	s_load_dwordx2 s[4:5], s[4:5], 0x40
	v_pk_mov_b32 v[2:3], s[72:73], s[72:73] op_sel:[0,1]
	s_waitcnt lgkmcnt(0)
	v_mad_u64_u32 v[10:11], s[6:7], s33, v32, v[2:3]
	s_ashr_i32 s8, s33, 31
	v_mov_b32_e32 v2, v11
	v_cvt_f64_f32_e32 v[8:9], v73
	v_mad_u64_u32 v[2:3], s[6:7], s8, v32, v[2:3]
	v_div_scale_f64 v[12:13], s[6:7], s[4:5], s[4:5], v[8:9]
	v_mov_b32_e32 v11, v2
	v_rcp_f64_e32 v[14:15], v[12:13]
	v_lshlrev_b64 v[2:3], 2, v[10:11]
	v_mov_b32_e32 v5, s71
	v_add_co_u32_e32 v4, vcc, s70, v2
	v_add_u32_e32 v16, 0x80, v0
	v_addc_co_u32_e32 v5, vcc, v5, v3, vcc
	global_store_dword v[4:5], v16, off
	v_fma_f64 v[16:17], -v[12:13], v[14:15], 1.0
	v_fmac_f64_e32 v[14:15], v[14:15], v[16:17]
	v_fma_f64 v[16:17], -v[12:13], v[14:15], 1.0
	v_fmac_f64_e32 v[14:15], v[14:15], v[16:17]
	v_div_scale_f64 v[16:17], vcc, v[8:9], s[4:5], v[8:9]
	v_mul_f64 v[18:19], v[16:17], v[14:15]
	v_fma_f64 v[12:13], -v[12:13], v[18:19], v[16:17]
	s_nop 1
	v_div_fmas_f64 v[12:13], v[12:13], v[14:15], v[18:19]
	v_div_fixup_f64 v[8:9], v[12:13], s[4:5], v[8:9]
	v_cvt_f32_f64_e32 v8, v[8:9]
	v_mov_b32_e32 v9, s69
	v_add_co_u32_e32 v14, vcc, s68, v2
	v_addc_co_u32_e32 v15, vcc, v9, v3, vcc
	v_cmp_lt_u64_e64 s[4:5], s[78:79], 2
	s_and_b64 vcc, exec, s[4:5]
	global_store_dword v[14:15], v8, off
	s_cbranch_vccnz .LBB11_217
; %bb.208:
	s_cmp_eq_u64 s[78:79], 2
	s_cbranch_scc1 .LBB11_213
; %bb.209:
	v_add_co_u32_e32 v2, vcc, 1, v0
	v_addc_co_u32_e32 v3, vcc, 0, v1, vcc
	s_add_u32 s4, s78, -1
	v_add_co_u32_e32 v12, vcc, 4, v4
	s_addc_u32 s5, s79, -1
	v_addc_co_u32_e32 v13, vcc, 0, v5, vcc
	s_and_b32 s6, s4, -2
	s_mov_b32 s7, s5
	v_add_co_u32_e32 v14, vcc, 4, v14
	v_pk_mov_b32 v[4:5], v[2:3], v[2:3] op_sel:[0,1]
	v_mov_b32_e32 v9, v8
	v_addc_co_u32_e32 v15, vcc, 0, v15, vcc
	s_mov_b64 s[8:9], s[6:7]
	v_pk_mov_b32 v[2:3], v[0:1], v[0:1] op_sel:[0,1]
.LBB11_210:                             ; =>This Inner Loop Header: Depth=1
	v_add_u32_e32 v17, 0x81, v4
	v_add_co_u32_e32 v4, vcc, 2, v4
	v_addc_co_u32_e32 v5, vcc, 0, v5, vcc
	v_add_u32_e32 v16, 0x81, v2
	v_add_co_u32_e32 v2, vcc, 2, v2
	v_addc_co_u32_e32 v3, vcc, 0, v3, vcc
	global_store_dwordx2 v[14:15], v[8:9], off
	v_add_co_u32_e32 v14, vcc, 8, v14
	v_addc_co_u32_e32 v15, vcc, 0, v15, vcc
	s_add_u32 s8, s8, -2
	global_store_dwordx2 v[12:13], v[16:17], off
	s_addc_u32 s9, s9, -1
	v_add_co_u32_e32 v12, vcc, 8, v12
	s_cmp_lg_u64 s[8:9], 0
	v_addc_co_u32_e32 v13, vcc, 0, v13, vcc
	s_cbranch_scc1 .LBB11_210
; %bb.211:
	s_cmp_eq_u64 s[4:5], s[6:7]
	s_cbranch_scc1 .LBB11_214
; %bb.212:
	v_mov_b32_e32 v1, s7
	v_add_co_u32_e32 v10, vcc, s6, v10
	s_or_b32 s4, s4, 1
	v_add_u32_e32 v0, s6, v0
	v_addc_co_u32_e32 v11, vcc, v11, v1, vcc
	s_cbranch_execnz .LBB11_215
	s_branch .LBB11_217
.LBB11_213:
	s_mov_b32 s4, 1
	s_cbranch_execnz .LBB11_215
	s_branch .LBB11_217
.LBB11_214:
	s_mov_b32 s4, 1
                                        ; implicit-def: $vgpr10_vgpr11
                                        ; implicit-def: $vgpr0
	s_branch .LBB11_217
.LBB11_215:
	v_add_u32_e32 v9, 0x81, v0
	v_lshlrev_b64 v[0:1], 2, v[10:11]
	v_add_co_u32_e32 v2, vcc, 4, v0
	v_addc_co_u32_e32 v3, vcc, 0, v1, vcc
	v_mov_b32_e32 v1, s69
	v_add_co_u32_e32 v0, vcc, s68, v2
	v_addc_co_u32_e32 v1, vcc, v1, v3, vcc
	v_mov_b32_e32 v4, s71
	v_add_co_u32_e32 v2, vcc, s70, v2
	s_mov_b32 s5, 0
	v_addc_co_u32_e32 v3, vcc, v4, v3, vcc
	v_pk_mov_b32 v[4:5], s[78:79], s[78:79] op_sel:[0,1]
.LBB11_216:                             ; =>This Inner Loop Header: Depth=1
	global_store_dword v[2:3], v9, off
	global_store_dword v[0:1], v8, off
	v_add_co_u32_e32 v0, vcc, 4, v0
	v_addc_co_u32_e32 v1, vcc, 0, v1, vcc
	s_add_u32 s4, s4, 1
	v_add_co_u32_e32 v2, vcc, 4, v2
	v_addc_co_u32_e32 v3, vcc, 0, v3, vcc
	s_addc_u32 s5, s5, 0
	v_cmp_lt_u64_e32 vcc, s[4:5], v[4:5]
	v_add_u32_e32 v9, 1, v9
	s_cbranch_vccnz .LBB11_216
.LBB11_217:
	s_or_b64 exec, exec, s[2:3]
	v_cmp_gt_i64_e64 s[4:5], s[76:77], 0
	s_mov_b64 s[2:3], 0
	s_and_b64 s[0:1], s[0:1], s[4:5]
	s_waitcnt lgkmcnt(0)
	s_barrier
	s_and_b64 exec, exec, s[0:1]
	s_cbranch_execz .LBB11_224
; %bb.218:
	v_mad_u64_u32 v[0:1], s[0:1], s33, v32, 0
	s_ashr_i32 s4, s33, 31
	v_mov_b32_e32 v2, v1
	v_mad_u64_u32 v[2:3], s[0:1], s4, v32, v[2:3]
	v_mov_b32_e32 v1, v2
	v_lshlrev_b64 v[0:1], 2, v[0:1]
	v_mov_b32_e32 v2, s69
	v_add_co_u32_e32 v4, vcc, s68, v0
	v_addc_co_u32_e32 v5, vcc, v2, v1, vcc
	v_cmp_lt_u64_e64 s[0:1], s[76:77], 8
	s_and_b64 vcc, exec, s[0:1]
	s_cbranch_vccnz .LBB11_221
; %bb.219:
	s_and_b32 s3, s77, 0x7fffffff
	s_and_b32 s2, s76, -8
	s_mov_b64 s[0:1], 0
	s_mov_b64 s[4:5], s[2:3]
.LBB11_220:                             ; =>This Inner Loop Header: Depth=1
	v_mov_b32_e32 v1, s1
	v_add_co_u32_e32 v2, vcc, s0, v6
	v_addc_co_u32_e32 v3, vcc, v7, v1, vcc
	flat_load_dword v8, v[2:3]
	v_add_co_u32_e32 v0, vcc, s0, v4
	v_addc_co_u32_e32 v1, vcc, v5, v1, vcc
	s_add_u32 s0, s0, 32
	s_addc_u32 s1, s1, 0
	s_add_u32 s4, s4, -8
	s_addc_u32 s5, s5, -1
	s_cmp_lg_u64 s[4:5], 0
	s_waitcnt vmcnt(0) lgkmcnt(0)
	v_div_scale_f32 v9, s[6:7], v73, v73, v8
	v_rcp_f32_e32 v11, v9
	v_div_scale_f32 v10, vcc, v8, v73, v8
	v_fma_f32 v12, -v9, v11, 1.0
	v_fmac_f32_e32 v11, v12, v11
	v_mul_f32_e32 v12, v10, v11
	v_fma_f32 v13, -v9, v12, v10
	v_fmac_f32_e32 v12, v13, v11
	v_fma_f32 v9, -v9, v12, v10
	v_div_fmas_f32 v9, v9, v11, v12
	v_div_fixup_f32 v8, v9, v73, v8
	global_store_dword v[0:1], v8, off
	flat_load_dword v8, v[2:3] offset:4
	s_waitcnt vmcnt(0) lgkmcnt(0)
	v_div_scale_f32 v9, s[6:7], v73, v73, v8
	v_rcp_f32_e32 v11, v9
	v_div_scale_f32 v10, vcc, v8, v73, v8
	v_fma_f32 v12, -v9, v11, 1.0
	v_fmac_f32_e32 v11, v12, v11
	v_mul_f32_e32 v12, v10, v11
	v_fma_f32 v13, -v9, v12, v10
	v_fmac_f32_e32 v12, v13, v11
	v_fma_f32 v9, -v9, v12, v10
	v_div_fmas_f32 v9, v9, v11, v12
	v_div_fixup_f32 v8, v9, v73, v8
	global_store_dword v[0:1], v8, off offset:4
	flat_load_dword v8, v[2:3] offset:8
	s_waitcnt vmcnt(0) lgkmcnt(0)
	v_div_scale_f32 v9, s[6:7], v73, v73, v8
	v_rcp_f32_e32 v11, v9
	v_div_scale_f32 v10, vcc, v8, v73, v8
	v_fma_f32 v12, -v9, v11, 1.0
	v_fmac_f32_e32 v11, v12, v11
	v_mul_f32_e32 v12, v10, v11
	v_fma_f32 v13, -v9, v12, v10
	v_fmac_f32_e32 v12, v13, v11
	v_fma_f32 v9, -v9, v12, v10
	v_div_fmas_f32 v9, v9, v11, v12
	v_div_fixup_f32 v8, v9, v73, v8
	global_store_dword v[0:1], v8, off offset:8
	;; [unrolled: 14-line block ×7, first 2 shown]
	s_cbranch_scc1 .LBB11_220
.LBB11_221:
	s_and_b32 s0, s76, 7
	s_mov_b32 s1, 0
	s_cmp_eq_u64 s[0:1], 0
	s_cbranch_scc1 .LBB11_224
; %bb.222:
	s_mov_b64 s[4:5], s[0:1]
.LBB11_223:                             ; =>This Inner Loop Header: Depth=1
	s_lshl_b64 s[6:7], s[2:3], 2
	v_mov_b32_e32 v2, s7
	v_add_co_u32_e32 v0, vcc, s6, v6
	v_addc_co_u32_e32 v1, vcc, v7, v2, vcc
	flat_load_dword v3, v[0:1]
	v_add_co_u32_e32 v0, vcc, s6, v4
	v_addc_co_u32_e32 v1, vcc, v5, v2, vcc
	s_add_i32 s0, s2, 1
	s_add_u32 s4, s4, -1
	s_addc_u32 s5, s5, -1
	s_mov_b64 s[2:3], s[0:1]
	s_cmp_lg_u64 s[4:5], 0
	s_waitcnt vmcnt(0) lgkmcnt(0)
	v_div_scale_f32 v2, s[6:7], v73, v73, v3
	v_rcp_f32_e32 v8, v2
	v_div_scale_f32 v9, vcc, v3, v73, v3
	v_fma_f32 v10, -v2, v8, 1.0
	v_fmac_f32_e32 v8, v10, v8
	v_mul_f32_e32 v10, v9, v8
	v_fma_f32 v11, -v2, v10, v9
	v_fmac_f32_e32 v10, v11, v8
	v_fma_f32 v2, -v2, v10, v9
	v_div_fmas_f32 v2, v2, v8, v10
	v_div_fixup_f32 v2, v2, v73, v3
	global_store_dword v[0:1], v2, off
	s_cbranch_scc1 .LBB11_223
.LBB11_224:
	s_endpgm
	.section	.rodata,"a",@progbits
	.p2align	6, 0x0
	.amdhsa_kernel _Z21moe_fused_gate_kernelIDF16_Li32ELi128ELi4ELi1EEvPvS0_PfPilllldi
		.amdhsa_group_segment_fixed_size 0
		.amdhsa_private_segment_fixed_size 0
		.amdhsa_kernarg_size 76
		.amdhsa_user_sgpr_count 6
		.amdhsa_user_sgpr_private_segment_buffer 1
		.amdhsa_user_sgpr_dispatch_ptr 0
		.amdhsa_user_sgpr_queue_ptr 0
		.amdhsa_user_sgpr_kernarg_segment_ptr 1
		.amdhsa_user_sgpr_dispatch_id 0
		.amdhsa_user_sgpr_flat_scratch_init 0
		.amdhsa_user_sgpr_kernarg_preload_length 0
		.amdhsa_user_sgpr_kernarg_preload_offset 0
		.amdhsa_user_sgpr_private_segment_size 0
		.amdhsa_uses_dynamic_stack 0
		.amdhsa_system_sgpr_private_segment_wavefront_offset 0
		.amdhsa_system_sgpr_workgroup_id_x 1
		.amdhsa_system_sgpr_workgroup_id_y 0
		.amdhsa_system_sgpr_workgroup_id_z 0
		.amdhsa_system_sgpr_workgroup_info 0
		.amdhsa_system_vgpr_workitem_id 1
		.amdhsa_next_free_vgpr 82
		.amdhsa_next_free_sgpr 85
		.amdhsa_accum_offset 84
		.amdhsa_reserve_vcc 1
		.amdhsa_reserve_flat_scratch 0
		.amdhsa_float_round_mode_32 0
		.amdhsa_float_round_mode_16_64 0
		.amdhsa_float_denorm_mode_32 3
		.amdhsa_float_denorm_mode_16_64 3
		.amdhsa_dx10_clamp 1
		.amdhsa_ieee_mode 1
		.amdhsa_fp16_overflow 0
		.amdhsa_tg_split 0
		.amdhsa_exception_fp_ieee_invalid_op 0
		.amdhsa_exception_fp_denorm_src 0
		.amdhsa_exception_fp_ieee_div_zero 0
		.amdhsa_exception_fp_ieee_overflow 0
		.amdhsa_exception_fp_ieee_underflow 0
		.amdhsa_exception_fp_ieee_inexact 0
		.amdhsa_exception_int_div_zero 0
	.end_amdhsa_kernel
	.section	.text._Z21moe_fused_gate_kernelIDF16_Li32ELi128ELi4ELi1EEvPvS0_PfPilllldi,"axG",@progbits,_Z21moe_fused_gate_kernelIDF16_Li32ELi128ELi4ELi1EEvPvS0_PfPilllldi,comdat
.Lfunc_end11:
	.size	_Z21moe_fused_gate_kernelIDF16_Li32ELi128ELi4ELi1EEvPvS0_PfPilllldi, .Lfunc_end11-_Z21moe_fused_gate_kernelIDF16_Li32ELi128ELi4ELi1EEvPvS0_PfPilllldi
                                        ; -- End function
	.section	.AMDGPU.csdata,"",@progbits
; Kernel info:
; codeLenInByte = 12500
; NumSgprs: 89
; NumVgprs: 82
; NumAgprs: 0
; TotalNumVgprs: 82
; ScratchSize: 0
; MemoryBound: 1
; FloatMode: 240
; IeeeMode: 1
; LDSByteSize: 0 bytes/workgroup (compile time only)
; SGPRBlocks: 11
; VGPRBlocks: 10
; NumSGPRsForWavesPerEU: 89
; NumVGPRsForWavesPerEU: 82
; AccumOffset: 84
; Occupancy: 5
; WaveLimiterHint : 0
; COMPUTE_PGM_RSRC2:SCRATCH_EN: 0
; COMPUTE_PGM_RSRC2:USER_SGPR: 6
; COMPUTE_PGM_RSRC2:TRAP_HANDLER: 0
; COMPUTE_PGM_RSRC2:TGID_X_EN: 1
; COMPUTE_PGM_RSRC2:TGID_Y_EN: 0
; COMPUTE_PGM_RSRC2:TGID_Z_EN: 0
; COMPUTE_PGM_RSRC2:TIDIG_COMP_CNT: 1
; COMPUTE_PGM_RSRC3_GFX90A:ACCUM_OFFSET: 20
; COMPUTE_PGM_RSRC3_GFX90A:TG_SPLIT: 0
	.section	.text._Z21moe_fused_gate_kernelIfLi32ELi128ELi4ELi1EEvPvS0_PfPilllldi,"axG",@progbits,_Z21moe_fused_gate_kernelIfLi32ELi128ELi4ELi1EEvPvS0_PfPilllldi,comdat
	.protected	_Z21moe_fused_gate_kernelIfLi32ELi128ELi4ELi1EEvPvS0_PfPilllldi ; -- Begin function _Z21moe_fused_gate_kernelIfLi32ELi128ELi4ELi1EEvPvS0_PfPilllldi
	.globl	_Z21moe_fused_gate_kernelIfLi32ELi128ELi4ELi1EEvPvS0_PfPilllldi
	.p2align	8
	.type	_Z21moe_fused_gate_kernelIfLi32ELi128ELi4ELi1EEvPvS0_PfPilllldi,@function
_Z21moe_fused_gate_kernelIfLi32ELi128ELi4ELi1EEvPvS0_PfPilllldi: ; @_Z21moe_fused_gate_kernelIfLi32ELi128ELi4ELi1EEvPvS0_PfPilllldi
; %bb.0:
	s_load_dwordx16 s[64:79], s[4:5], 0x0
	v_and_b32_e32 v69, 0x3ff, v0
	v_bfe_u32 v0, v0, 10, 10
	v_add_u32_e32 v0, s6, v0
	v_lshrrev_b32_e32 v1, 2, v69
	v_mov_b32_e32 v67, 0
	v_lshl_add_u32 v64, v0, 4, v1
	v_mov_b32_e32 v65, v67
	s_waitcnt lgkmcnt(0)
	v_cmp_gt_i64_e32 vcc, s[72:73], v[64:65]
	s_and_saveexec_b64 s[0:1], vcc
	s_cbranch_execz .LBB12_224
; %bb.1:
	v_lshlrev_b64 v[0:1], 9, v[64:65]
	v_mov_b32_e32 v2, s65
	v_add_co_u32_e32 v0, vcc, s64, v0
	v_and_b32_e32 v66, 3, v69
	v_addc_co_u32_e32 v1, vcc, v2, v1, vcc
	v_lshlrev_b32_e32 v28, 7, v66
	v_add_co_u32_e32 v24, vcc, v0, v28
	v_addc_co_u32_e32 v25, vcc, 0, v1, vcc
	global_load_dwordx4 v[60:63], v[24:25], off
	global_load_dwordx4 v[56:59], v[24:25], off offset:16
	global_load_dwordx4 v[0:3], v28, s[66:67] offset:112
	global_load_dwordx4 v[4:7], v28, s[66:67] offset:96
	;; [unrolled: 1-line block ×6, first 2 shown]
	global_load_dwordx4 v[32:35], v[24:25], off offset:112
	global_load_dwordx4 v[36:39], v[24:25], off offset:96
	;; [unrolled: 1-line block ×6, first 2 shown]
                                        ; kill: killed $vgpr24 killed $vgpr25
	s_nop 0
	global_load_dwordx4 v[24:27], v28, s[66:67] offset:16
	s_nop 0
	global_load_dwordx4 v[28:31], v28, s[66:67]
	s_waitcnt vmcnt(15)
	v_cmp_o_f32_e32 vcc, v60, v60
	s_and_saveexec_b64 s[0:1], vcc
	s_cbranch_execz .LBB12_3
; %bb.2:
	v_mul_f32_e32 v67, 0xbfb8aa3b, v60
	s_mov_b32 s2, 0xbfb8aa3b
	v_rndne_f32_e32 v68, v67
	v_sub_f32_e32 v70, v67, v68
	v_fma_f32 v67, v60, s2, -v67
	v_fmac_f32_e32 v67, 0xb2a5705f, v60
	v_add_f32_e32 v67, v70, v67
	v_exp_f32_e32 v67, v67
	v_cvt_i32_f32_e32 v68, v68
	s_mov_b32 s2, 0x42ce8ed0
	v_cmp_nlt_f32_e32 vcc, s2, v60
	s_mov_b32 s2, 0xc2b17218
	v_ldexp_f32 v67, v67, v68
	v_cndmask_b32_e32 v67, 0, v67, vcc
	v_mov_b32_e32 v68, 0x7f800000
	v_cmp_ngt_f32_e32 vcc, s2, v60
	v_cndmask_b32_e32 v60, v68, v67, vcc
	v_add_f32_e32 v60, 1.0, v60
	v_div_scale_f32 v67, s[2:3], v60, v60, 1.0
	v_rcp_f32_e32 v68, v67
	v_fma_f32 v70, -v67, v68, 1.0
	v_fmac_f32_e32 v68, v70, v68
	v_div_scale_f32 v70, vcc, 1.0, v60, 1.0
	v_mul_f32_e32 v71, v70, v68
	v_fma_f32 v72, -v67, v71, v70
	v_fmac_f32_e32 v71, v72, v68
	v_fma_f32 v67, -v67, v71, v70
	v_div_fmas_f32 v67, v67, v68, v71
	v_div_fixup_f32 v67, v67, v60, 1.0
.LBB12_3:
	s_or_b64 exec, exec, s[0:1]
	v_cmp_o_f32_e32 vcc, v61, v61
	v_mov_b32_e32 v60, 0
	v_mov_b32_e32 v68, 0
	s_and_saveexec_b64 s[0:1], vcc
	s_cbranch_execz .LBB12_5
; %bb.4:
	v_mul_f32_e32 v68, 0xbfb8aa3b, v61
	s_mov_b32 s2, 0xbfb8aa3b
	v_rndne_f32_e32 v70, v68
	v_sub_f32_e32 v71, v68, v70
	v_fma_f32 v68, v61, s2, -v68
	v_fmac_f32_e32 v68, 0xb2a5705f, v61
	v_add_f32_e32 v68, v71, v68
	v_exp_f32_e32 v68, v68
	v_cvt_i32_f32_e32 v70, v70
	s_mov_b32 s2, 0x42ce8ed0
	v_cmp_nlt_f32_e32 vcc, s2, v61
	s_mov_b32 s2, 0xc2b17218
	v_ldexp_f32 v68, v68, v70
	v_cndmask_b32_e32 v68, 0, v68, vcc
	v_mov_b32_e32 v70, 0x7f800000
	v_cmp_ngt_f32_e32 vcc, s2, v61
	v_cndmask_b32_e32 v61, v70, v68, vcc
	v_add_f32_e32 v61, 1.0, v61
	v_div_scale_f32 v68, s[2:3], v61, v61, 1.0
	v_rcp_f32_e32 v70, v68
	v_fma_f32 v71, -v68, v70, 1.0
	v_fmac_f32_e32 v70, v71, v70
	v_div_scale_f32 v71, vcc, 1.0, v61, 1.0
	v_mul_f32_e32 v72, v71, v70
	v_fma_f32 v73, -v68, v72, v71
	v_fmac_f32_e32 v72, v73, v70
	v_fma_f32 v68, -v68, v72, v71
	v_div_fmas_f32 v68, v68, v70, v72
	v_div_fixup_f32 v68, v68, v61, 1.0
.LBB12_5:
	s_or_b64 exec, exec, s[0:1]
	v_cmp_o_f32_e32 vcc, v62, v62
	s_and_saveexec_b64 s[0:1], vcc
	s_cbranch_execz .LBB12_7
; %bb.6:
	v_mul_f32_e32 v60, 0xbfb8aa3b, v62
	s_mov_b32 s2, 0xbfb8aa3b
	v_rndne_f32_e32 v61, v60
	v_sub_f32_e32 v70, v60, v61
	v_fma_f32 v60, v62, s2, -v60
	v_fmac_f32_e32 v60, 0xb2a5705f, v62
	v_add_f32_e32 v60, v70, v60
	v_exp_f32_e32 v60, v60
	v_cvt_i32_f32_e32 v61, v61
	s_mov_b32 s2, 0x42ce8ed0
	v_cmp_nlt_f32_e32 vcc, s2, v62
	s_mov_b32 s2, 0xc2b17218
	v_ldexp_f32 v60, v60, v61
	v_cndmask_b32_e32 v60, 0, v60, vcc
	v_mov_b32_e32 v61, 0x7f800000
	v_cmp_ngt_f32_e32 vcc, s2, v62
	v_cndmask_b32_e32 v60, v61, v60, vcc
	v_add_f32_e32 v60, 1.0, v60
	v_div_scale_f32 v61, s[2:3], v60, v60, 1.0
	v_rcp_f32_e32 v62, v61
	v_fma_f32 v70, -v61, v62, 1.0
	v_fmac_f32_e32 v62, v70, v62
	v_div_scale_f32 v70, vcc, 1.0, v60, 1.0
	v_mul_f32_e32 v71, v70, v62
	v_fma_f32 v72, -v61, v71, v70
	v_fmac_f32_e32 v71, v72, v62
	v_fma_f32 v61, -v61, v71, v70
	v_div_fmas_f32 v61, v61, v62, v71
	v_div_fixup_f32 v60, v61, v60, 1.0
.LBB12_7:
	s_or_b64 exec, exec, s[0:1]
	v_cmp_o_f32_e32 vcc, v63, v63
	v_mov_b32_e32 v61, 0
	v_mov_b32_e32 v62, 0
	s_and_saveexec_b64 s[0:1], vcc
	s_cbranch_execz .LBB12_9
; %bb.8:
	v_mul_f32_e32 v62, 0xbfb8aa3b, v63
	s_mov_b32 s2, 0xbfb8aa3b
	v_rndne_f32_e32 v70, v62
	v_sub_f32_e32 v71, v62, v70
	v_fma_f32 v62, v63, s2, -v62
	v_fmac_f32_e32 v62, 0xb2a5705f, v63
	v_add_f32_e32 v62, v71, v62
	v_exp_f32_e32 v62, v62
	v_cvt_i32_f32_e32 v70, v70
	s_mov_b32 s2, 0x42ce8ed0
	v_cmp_nlt_f32_e32 vcc, s2, v63
	s_mov_b32 s2, 0xc2b17218
	v_ldexp_f32 v62, v62, v70
	v_cndmask_b32_e32 v62, 0, v62, vcc
	v_mov_b32_e32 v70, 0x7f800000
	v_cmp_ngt_f32_e32 vcc, s2, v63
	v_cndmask_b32_e32 v62, v70, v62, vcc
	v_add_f32_e32 v62, 1.0, v62
	v_div_scale_f32 v63, s[2:3], v62, v62, 1.0
	v_rcp_f32_e32 v70, v63
	v_fma_f32 v71, -v63, v70, 1.0
	v_fmac_f32_e32 v70, v71, v70
	v_div_scale_f32 v71, vcc, 1.0, v62, 1.0
	v_mul_f32_e32 v72, v71, v70
	v_fma_f32 v73, -v63, v72, v71
	v_fmac_f32_e32 v72, v73, v70
	v_fma_f32 v63, -v63, v72, v71
	v_div_fmas_f32 v63, v63, v70, v72
	v_div_fixup_f32 v62, v63, v62, 1.0
.LBB12_9:
	s_or_b64 exec, exec, s[0:1]
	s_waitcnt vmcnt(14)
	v_cmp_o_f32_e32 vcc, v56, v56
	s_and_saveexec_b64 s[0:1], vcc
	s_cbranch_execz .LBB12_11
; %bb.10:
	v_mul_f32_e32 v61, 0xbfb8aa3b, v56
	s_mov_b32 s2, 0xbfb8aa3b
	v_rndne_f32_e32 v63, v61
	v_sub_f32_e32 v70, v61, v63
	v_fma_f32 v61, v56, s2, -v61
	v_fmac_f32_e32 v61, 0xb2a5705f, v56
	v_add_f32_e32 v61, v70, v61
	v_exp_f32_e32 v61, v61
	v_cvt_i32_f32_e32 v63, v63
	s_mov_b32 s2, 0x42ce8ed0
	v_cmp_nlt_f32_e32 vcc, s2, v56
	s_mov_b32 s2, 0xc2b17218
	v_ldexp_f32 v61, v61, v63
	v_cndmask_b32_e32 v61, 0, v61, vcc
	v_mov_b32_e32 v63, 0x7f800000
	v_cmp_ngt_f32_e32 vcc, s2, v56
	v_cndmask_b32_e32 v56, v63, v61, vcc
	v_add_f32_e32 v56, 1.0, v56
	v_div_scale_f32 v61, s[2:3], v56, v56, 1.0
	v_rcp_f32_e32 v63, v61
	v_fma_f32 v70, -v61, v63, 1.0
	v_fmac_f32_e32 v63, v70, v63
	v_div_scale_f32 v70, vcc, 1.0, v56, 1.0
	v_mul_f32_e32 v71, v70, v63
	v_fma_f32 v72, -v61, v71, v70
	v_fmac_f32_e32 v71, v72, v63
	v_fma_f32 v61, -v61, v71, v70
	v_div_fmas_f32 v61, v61, v63, v71
	v_div_fixup_f32 v61, v61, v56, 1.0
.LBB12_11:
	s_or_b64 exec, exec, s[0:1]
	v_cmp_o_f32_e32 vcc, v57, v57
	v_mov_b32_e32 v56, 0
	v_mov_b32_e32 v63, 0
	s_and_saveexec_b64 s[0:1], vcc
	s_cbranch_execz .LBB12_13
; %bb.12:
	v_mul_f32_e32 v63, 0xbfb8aa3b, v57
	s_mov_b32 s2, 0xbfb8aa3b
	v_rndne_f32_e32 v70, v63
	v_sub_f32_e32 v71, v63, v70
	v_fma_f32 v63, v57, s2, -v63
	v_fmac_f32_e32 v63, 0xb2a5705f, v57
	v_add_f32_e32 v63, v71, v63
	v_exp_f32_e32 v63, v63
	v_cvt_i32_f32_e32 v70, v70
	s_mov_b32 s2, 0x42ce8ed0
	v_cmp_nlt_f32_e32 vcc, s2, v57
	s_mov_b32 s2, 0xc2b17218
	v_ldexp_f32 v63, v63, v70
	v_cndmask_b32_e32 v63, 0, v63, vcc
	v_mov_b32_e32 v70, 0x7f800000
	v_cmp_ngt_f32_e32 vcc, s2, v57
	v_cndmask_b32_e32 v57, v70, v63, vcc
	v_add_f32_e32 v57, 1.0, v57
	v_div_scale_f32 v63, s[2:3], v57, v57, 1.0
	v_rcp_f32_e32 v70, v63
	v_fma_f32 v71, -v63, v70, 1.0
	v_fmac_f32_e32 v70, v71, v70
	v_div_scale_f32 v71, vcc, 1.0, v57, 1.0
	v_mul_f32_e32 v72, v71, v70
	v_fma_f32 v73, -v63, v72, v71
	v_fmac_f32_e32 v72, v73, v70
	v_fma_f32 v63, -v63, v72, v71
	v_div_fmas_f32 v63, v63, v70, v72
	v_div_fixup_f32 v63, v63, v57, 1.0
.LBB12_13:
	s_or_b64 exec, exec, s[0:1]
	v_cmp_o_f32_e32 vcc, v58, v58
	s_and_saveexec_b64 s[0:1], vcc
	s_cbranch_execz .LBB12_15
; %bb.14:
	v_mul_f32_e32 v56, 0xbfb8aa3b, v58
	s_mov_b32 s2, 0xbfb8aa3b
	v_rndne_f32_e32 v57, v56
	v_sub_f32_e32 v70, v56, v57
	v_fma_f32 v56, v58, s2, -v56
	v_fmac_f32_e32 v56, 0xb2a5705f, v58
	v_add_f32_e32 v56, v70, v56
	v_exp_f32_e32 v56, v56
	v_cvt_i32_f32_e32 v57, v57
	s_mov_b32 s2, 0x42ce8ed0
	v_cmp_nlt_f32_e32 vcc, s2, v58
	s_mov_b32 s2, 0xc2b17218
	v_ldexp_f32 v56, v56, v57
	v_cndmask_b32_e32 v56, 0, v56, vcc
	v_mov_b32_e32 v57, 0x7f800000
	v_cmp_ngt_f32_e32 vcc, s2, v58
	v_cndmask_b32_e32 v56, v57, v56, vcc
	v_add_f32_e32 v56, 1.0, v56
	v_div_scale_f32 v57, s[2:3], v56, v56, 1.0
	v_rcp_f32_e32 v58, v57
	v_fma_f32 v70, -v57, v58, 1.0
	v_fmac_f32_e32 v58, v70, v58
	v_div_scale_f32 v70, vcc, 1.0, v56, 1.0
	v_mul_f32_e32 v71, v70, v58
	v_fma_f32 v72, -v57, v71, v70
	v_fmac_f32_e32 v71, v72, v58
	v_fma_f32 v57, -v57, v71, v70
	v_div_fmas_f32 v57, v57, v58, v71
	v_div_fixup_f32 v56, v57, v56, 1.0
.LBB12_15:
	s_or_b64 exec, exec, s[0:1]
	v_cmp_o_f32_e32 vcc, v59, v59
	v_mov_b32_e32 v57, 0
	v_mov_b32_e32 v58, 0
	s_and_saveexec_b64 s[0:1], vcc
	s_cbranch_execz .LBB12_17
; %bb.16:
	v_mul_f32_e32 v58, 0xbfb8aa3b, v59
	s_mov_b32 s2, 0xbfb8aa3b
	v_rndne_f32_e32 v70, v58
	v_sub_f32_e32 v71, v58, v70
	v_fma_f32 v58, v59, s2, -v58
	v_fmac_f32_e32 v58, 0xb2a5705f, v59
	v_add_f32_e32 v58, v71, v58
	v_exp_f32_e32 v58, v58
	v_cvt_i32_f32_e32 v70, v70
	s_mov_b32 s2, 0x42ce8ed0
	v_cmp_nlt_f32_e32 vcc, s2, v59
	s_mov_b32 s2, 0xc2b17218
	v_ldexp_f32 v58, v58, v70
	v_cndmask_b32_e32 v58, 0, v58, vcc
	v_mov_b32_e32 v70, 0x7f800000
	v_cmp_ngt_f32_e32 vcc, s2, v59
	v_cndmask_b32_e32 v58, v70, v58, vcc
	v_add_f32_e32 v58, 1.0, v58
	v_div_scale_f32 v59, s[2:3], v58, v58, 1.0
	v_rcp_f32_e32 v70, v59
	v_fma_f32 v71, -v59, v70, 1.0
	v_fmac_f32_e32 v70, v71, v70
	v_div_scale_f32 v71, vcc, 1.0, v58, 1.0
	v_mul_f32_e32 v72, v71, v70
	v_fma_f32 v73, -v59, v72, v71
	v_fmac_f32_e32 v72, v73, v70
	v_fma_f32 v59, -v59, v72, v71
	v_div_fmas_f32 v59, v59, v70, v72
	v_div_fixup_f32 v58, v59, v58, 1.0
.LBB12_17:
	s_or_b64 exec, exec, s[0:1]
	s_waitcnt vmcnt(2)
	v_cmp_o_f32_e32 vcc, v52, v52
	s_and_saveexec_b64 s[0:1], vcc
	s_cbranch_execz .LBB12_19
; %bb.18:
	v_mul_f32_e32 v57, 0xbfb8aa3b, v52
	s_mov_b32 s2, 0xbfb8aa3b
	v_rndne_f32_e32 v59, v57
	v_sub_f32_e32 v70, v57, v59
	v_fma_f32 v57, v52, s2, -v57
	v_fmac_f32_e32 v57, 0xb2a5705f, v52
	v_add_f32_e32 v57, v70, v57
	v_exp_f32_e32 v57, v57
	v_cvt_i32_f32_e32 v59, v59
	s_mov_b32 s2, 0x42ce8ed0
	v_cmp_nlt_f32_e32 vcc, s2, v52
	s_mov_b32 s2, 0xc2b17218
	v_ldexp_f32 v57, v57, v59
	v_cndmask_b32_e32 v57, 0, v57, vcc
	v_mov_b32_e32 v59, 0x7f800000
	v_cmp_ngt_f32_e32 vcc, s2, v52
	v_cndmask_b32_e32 v52, v59, v57, vcc
	v_add_f32_e32 v52, 1.0, v52
	v_div_scale_f32 v57, s[2:3], v52, v52, 1.0
	v_rcp_f32_e32 v59, v57
	v_fma_f32 v70, -v57, v59, 1.0
	v_fmac_f32_e32 v59, v70, v59
	v_div_scale_f32 v70, vcc, 1.0, v52, 1.0
	v_mul_f32_e32 v71, v70, v59
	v_fma_f32 v72, -v57, v71, v70
	v_fmac_f32_e32 v71, v72, v59
	v_fma_f32 v57, -v57, v71, v70
	v_div_fmas_f32 v57, v57, v59, v71
	v_div_fixup_f32 v57, v57, v52, 1.0
.LBB12_19:
	s_or_b64 exec, exec, s[0:1]
	v_cmp_o_f32_e32 vcc, v53, v53
	v_mov_b32_e32 v52, 0
	v_mov_b32_e32 v59, 0
	s_and_saveexec_b64 s[0:1], vcc
	s_cbranch_execz .LBB12_21
; %bb.20:
	v_mul_f32_e32 v59, 0xbfb8aa3b, v53
	s_mov_b32 s2, 0xbfb8aa3b
	v_rndne_f32_e32 v70, v59
	v_sub_f32_e32 v71, v59, v70
	v_fma_f32 v59, v53, s2, -v59
	v_fmac_f32_e32 v59, 0xb2a5705f, v53
	v_add_f32_e32 v59, v71, v59
	v_exp_f32_e32 v59, v59
	v_cvt_i32_f32_e32 v70, v70
	s_mov_b32 s2, 0x42ce8ed0
	v_cmp_nlt_f32_e32 vcc, s2, v53
	s_mov_b32 s2, 0xc2b17218
	v_ldexp_f32 v59, v59, v70
	v_cndmask_b32_e32 v59, 0, v59, vcc
	v_mov_b32_e32 v70, 0x7f800000
	v_cmp_ngt_f32_e32 vcc, s2, v53
	v_cndmask_b32_e32 v53, v70, v59, vcc
	v_add_f32_e32 v53, 1.0, v53
	v_div_scale_f32 v59, s[2:3], v53, v53, 1.0
	v_rcp_f32_e32 v70, v59
	v_fma_f32 v71, -v59, v70, 1.0
	v_fmac_f32_e32 v70, v71, v70
	v_div_scale_f32 v71, vcc, 1.0, v53, 1.0
	v_mul_f32_e32 v72, v71, v70
	v_fma_f32 v73, -v59, v72, v71
	v_fmac_f32_e32 v72, v73, v70
	v_fma_f32 v59, -v59, v72, v71
	v_div_fmas_f32 v59, v59, v70, v72
	v_div_fixup_f32 v59, v59, v53, 1.0
.LBB12_21:
	s_or_b64 exec, exec, s[0:1]
	v_cmp_o_f32_e32 vcc, v54, v54
	s_and_saveexec_b64 s[0:1], vcc
	s_cbranch_execz .LBB12_23
; %bb.22:
	v_mul_f32_e32 v52, 0xbfb8aa3b, v54
	s_mov_b32 s2, 0xbfb8aa3b
	v_rndne_f32_e32 v53, v52
	v_sub_f32_e32 v70, v52, v53
	v_fma_f32 v52, v54, s2, -v52
	v_fmac_f32_e32 v52, 0xb2a5705f, v54
	v_add_f32_e32 v52, v70, v52
	v_exp_f32_e32 v52, v52
	v_cvt_i32_f32_e32 v53, v53
	s_mov_b32 s2, 0x42ce8ed0
	v_cmp_nlt_f32_e32 vcc, s2, v54
	s_mov_b32 s2, 0xc2b17218
	v_ldexp_f32 v52, v52, v53
	v_cndmask_b32_e32 v52, 0, v52, vcc
	v_mov_b32_e32 v53, 0x7f800000
	v_cmp_ngt_f32_e32 vcc, s2, v54
	v_cndmask_b32_e32 v52, v53, v52, vcc
	v_add_f32_e32 v52, 1.0, v52
	v_div_scale_f32 v53, s[2:3], v52, v52, 1.0
	v_rcp_f32_e32 v54, v53
	v_fma_f32 v70, -v53, v54, 1.0
	v_fmac_f32_e32 v54, v70, v54
	v_div_scale_f32 v70, vcc, 1.0, v52, 1.0
	v_mul_f32_e32 v71, v70, v54
	v_fma_f32 v72, -v53, v71, v70
	v_fmac_f32_e32 v71, v72, v54
	v_fma_f32 v53, -v53, v71, v70
	v_div_fmas_f32 v53, v53, v54, v71
	v_div_fixup_f32 v52, v53, v52, 1.0
.LBB12_23:
	s_or_b64 exec, exec, s[0:1]
	v_cmp_o_f32_e32 vcc, v55, v55
	v_mov_b32_e32 v53, 0
	v_mov_b32_e32 v54, 0
	s_and_saveexec_b64 s[0:1], vcc
	s_cbranch_execz .LBB12_25
; %bb.24:
	v_mul_f32_e32 v54, 0xbfb8aa3b, v55
	s_mov_b32 s2, 0xbfb8aa3b
	v_rndne_f32_e32 v70, v54
	v_sub_f32_e32 v71, v54, v70
	v_fma_f32 v54, v55, s2, -v54
	v_fmac_f32_e32 v54, 0xb2a5705f, v55
	v_add_f32_e32 v54, v71, v54
	v_exp_f32_e32 v54, v54
	v_cvt_i32_f32_e32 v70, v70
	s_mov_b32 s2, 0x42ce8ed0
	v_cmp_nlt_f32_e32 vcc, s2, v55
	s_mov_b32 s2, 0xc2b17218
	v_ldexp_f32 v54, v54, v70
	v_cndmask_b32_e32 v54, 0, v54, vcc
	v_mov_b32_e32 v70, 0x7f800000
	v_cmp_ngt_f32_e32 vcc, s2, v55
	v_cndmask_b32_e32 v54, v70, v54, vcc
	v_add_f32_e32 v54, 1.0, v54
	v_div_scale_f32 v55, s[2:3], v54, v54, 1.0
	v_rcp_f32_e32 v70, v55
	v_fma_f32 v71, -v55, v70, 1.0
	v_fmac_f32_e32 v70, v71, v70
	v_div_scale_f32 v71, vcc, 1.0, v54, 1.0
	v_mul_f32_e32 v72, v71, v70
	v_fma_f32 v73, -v55, v72, v71
	v_fmac_f32_e32 v72, v73, v70
	v_fma_f32 v55, -v55, v72, v71
	v_div_fmas_f32 v55, v55, v70, v72
	v_div_fixup_f32 v54, v55, v54, 1.0
.LBB12_25:
	s_or_b64 exec, exec, s[0:1]
	v_cmp_o_f32_e32 vcc, v48, v48
	s_and_saveexec_b64 s[0:1], vcc
	s_cbranch_execz .LBB12_27
; %bb.26:
	v_mul_f32_e32 v53, 0xbfb8aa3b, v48
	s_mov_b32 s2, 0xbfb8aa3b
	v_rndne_f32_e32 v55, v53
	v_sub_f32_e32 v70, v53, v55
	v_fma_f32 v53, v48, s2, -v53
	v_fmac_f32_e32 v53, 0xb2a5705f, v48
	v_add_f32_e32 v53, v70, v53
	v_exp_f32_e32 v53, v53
	v_cvt_i32_f32_e32 v55, v55
	s_mov_b32 s2, 0x42ce8ed0
	v_cmp_nlt_f32_e32 vcc, s2, v48
	s_mov_b32 s2, 0xc2b17218
	v_ldexp_f32 v53, v53, v55
	v_cndmask_b32_e32 v53, 0, v53, vcc
	v_mov_b32_e32 v55, 0x7f800000
	v_cmp_ngt_f32_e32 vcc, s2, v48
	v_cndmask_b32_e32 v48, v55, v53, vcc
	v_add_f32_e32 v48, 1.0, v48
	v_div_scale_f32 v53, s[2:3], v48, v48, 1.0
	v_rcp_f32_e32 v55, v53
	v_fma_f32 v70, -v53, v55, 1.0
	v_fmac_f32_e32 v55, v70, v55
	v_div_scale_f32 v70, vcc, 1.0, v48, 1.0
	v_mul_f32_e32 v71, v70, v55
	v_fma_f32 v72, -v53, v71, v70
	v_fmac_f32_e32 v71, v72, v55
	v_fma_f32 v53, -v53, v71, v70
	v_div_fmas_f32 v53, v53, v55, v71
	v_div_fixup_f32 v53, v53, v48, 1.0
.LBB12_27:
	s_or_b64 exec, exec, s[0:1]
	v_cmp_o_f32_e32 vcc, v49, v49
	v_mov_b32_e32 v48, 0
	v_mov_b32_e32 v55, 0
	s_and_saveexec_b64 s[0:1], vcc
	s_cbranch_execz .LBB12_29
; %bb.28:
	v_mul_f32_e32 v55, 0xbfb8aa3b, v49
	s_mov_b32 s2, 0xbfb8aa3b
	v_rndne_f32_e32 v70, v55
	v_sub_f32_e32 v71, v55, v70
	v_fma_f32 v55, v49, s2, -v55
	v_fmac_f32_e32 v55, 0xb2a5705f, v49
	v_add_f32_e32 v55, v71, v55
	v_exp_f32_e32 v55, v55
	v_cvt_i32_f32_e32 v70, v70
	s_mov_b32 s2, 0x42ce8ed0
	v_cmp_nlt_f32_e32 vcc, s2, v49
	s_mov_b32 s2, 0xc2b17218
	v_ldexp_f32 v55, v55, v70
	v_cndmask_b32_e32 v55, 0, v55, vcc
	v_mov_b32_e32 v70, 0x7f800000
	v_cmp_ngt_f32_e32 vcc, s2, v49
	v_cndmask_b32_e32 v49, v70, v55, vcc
	v_add_f32_e32 v49, 1.0, v49
	v_div_scale_f32 v55, s[2:3], v49, v49, 1.0
	v_rcp_f32_e32 v70, v55
	v_fma_f32 v71, -v55, v70, 1.0
	v_fmac_f32_e32 v70, v71, v70
	v_div_scale_f32 v71, vcc, 1.0, v49, 1.0
	v_mul_f32_e32 v72, v71, v70
	v_fma_f32 v73, -v55, v72, v71
	v_fmac_f32_e32 v72, v73, v70
	v_fma_f32 v55, -v55, v72, v71
	v_div_fmas_f32 v55, v55, v70, v72
	v_div_fixup_f32 v55, v55, v49, 1.0
.LBB12_29:
	s_or_b64 exec, exec, s[0:1]
	v_cmp_o_f32_e32 vcc, v50, v50
	s_and_saveexec_b64 s[0:1], vcc
	s_cbranch_execz .LBB12_31
; %bb.30:
	v_mul_f32_e32 v48, 0xbfb8aa3b, v50
	s_mov_b32 s2, 0xbfb8aa3b
	v_rndne_f32_e32 v49, v48
	v_sub_f32_e32 v70, v48, v49
	v_fma_f32 v48, v50, s2, -v48
	v_fmac_f32_e32 v48, 0xb2a5705f, v50
	v_add_f32_e32 v48, v70, v48
	v_exp_f32_e32 v48, v48
	v_cvt_i32_f32_e32 v49, v49
	s_mov_b32 s2, 0x42ce8ed0
	v_cmp_nlt_f32_e32 vcc, s2, v50
	s_mov_b32 s2, 0xc2b17218
	v_ldexp_f32 v48, v48, v49
	v_cndmask_b32_e32 v48, 0, v48, vcc
	v_mov_b32_e32 v49, 0x7f800000
	v_cmp_ngt_f32_e32 vcc, s2, v50
	v_cndmask_b32_e32 v48, v49, v48, vcc
	v_add_f32_e32 v48, 1.0, v48
	v_div_scale_f32 v49, s[2:3], v48, v48, 1.0
	v_rcp_f32_e32 v50, v49
	v_fma_f32 v70, -v49, v50, 1.0
	v_fmac_f32_e32 v50, v70, v50
	v_div_scale_f32 v70, vcc, 1.0, v48, 1.0
	v_mul_f32_e32 v71, v70, v50
	v_fma_f32 v72, -v49, v71, v70
	v_fmac_f32_e32 v71, v72, v50
	v_fma_f32 v49, -v49, v71, v70
	v_div_fmas_f32 v49, v49, v50, v71
	v_div_fixup_f32 v48, v49, v48, 1.0
.LBB12_31:
	s_or_b64 exec, exec, s[0:1]
	v_cmp_o_f32_e32 vcc, v51, v51
	v_mov_b32_e32 v49, 0
	v_mov_b32_e32 v50, 0
	s_and_saveexec_b64 s[0:1], vcc
	s_cbranch_execz .LBB12_33
; %bb.32:
	v_mul_f32_e32 v50, 0xbfb8aa3b, v51
	s_mov_b32 s2, 0xbfb8aa3b
	v_rndne_f32_e32 v70, v50
	v_sub_f32_e32 v71, v50, v70
	v_fma_f32 v50, v51, s2, -v50
	v_fmac_f32_e32 v50, 0xb2a5705f, v51
	v_add_f32_e32 v50, v71, v50
	v_exp_f32_e32 v50, v50
	v_cvt_i32_f32_e32 v70, v70
	s_mov_b32 s2, 0x42ce8ed0
	v_cmp_nlt_f32_e32 vcc, s2, v51
	s_mov_b32 s2, 0xc2b17218
	v_ldexp_f32 v50, v50, v70
	v_cndmask_b32_e32 v50, 0, v50, vcc
	v_mov_b32_e32 v70, 0x7f800000
	v_cmp_ngt_f32_e32 vcc, s2, v51
	v_cndmask_b32_e32 v50, v70, v50, vcc
	v_add_f32_e32 v50, 1.0, v50
	v_div_scale_f32 v51, s[2:3], v50, v50, 1.0
	v_rcp_f32_e32 v70, v51
	v_fma_f32 v71, -v51, v70, 1.0
	v_fmac_f32_e32 v70, v71, v70
	v_div_scale_f32 v71, vcc, 1.0, v50, 1.0
	v_mul_f32_e32 v72, v71, v70
	v_fma_f32 v73, -v51, v72, v71
	v_fmac_f32_e32 v72, v73, v70
	v_fma_f32 v51, -v51, v72, v71
	v_div_fmas_f32 v51, v51, v70, v72
	v_div_fixup_f32 v50, v51, v50, 1.0
.LBB12_33:
	s_or_b64 exec, exec, s[0:1]
	v_cmp_o_f32_e32 vcc, v44, v44
	s_and_saveexec_b64 s[0:1], vcc
	s_cbranch_execz .LBB12_35
; %bb.34:
	v_mul_f32_e32 v49, 0xbfb8aa3b, v44
	s_mov_b32 s2, 0xbfb8aa3b
	v_rndne_f32_e32 v51, v49
	v_sub_f32_e32 v70, v49, v51
	v_fma_f32 v49, v44, s2, -v49
	v_fmac_f32_e32 v49, 0xb2a5705f, v44
	v_add_f32_e32 v49, v70, v49
	v_exp_f32_e32 v49, v49
	v_cvt_i32_f32_e32 v51, v51
	s_mov_b32 s2, 0x42ce8ed0
	v_cmp_nlt_f32_e32 vcc, s2, v44
	s_mov_b32 s2, 0xc2b17218
	v_ldexp_f32 v49, v49, v51
	v_cndmask_b32_e32 v49, 0, v49, vcc
	v_mov_b32_e32 v51, 0x7f800000
	v_cmp_ngt_f32_e32 vcc, s2, v44
	v_cndmask_b32_e32 v44, v51, v49, vcc
	v_add_f32_e32 v44, 1.0, v44
	v_div_scale_f32 v49, s[2:3], v44, v44, 1.0
	v_rcp_f32_e32 v51, v49
	v_fma_f32 v70, -v49, v51, 1.0
	v_fmac_f32_e32 v51, v70, v51
	v_div_scale_f32 v70, vcc, 1.0, v44, 1.0
	v_mul_f32_e32 v71, v70, v51
	v_fma_f32 v72, -v49, v71, v70
	v_fmac_f32_e32 v71, v72, v51
	v_fma_f32 v49, -v49, v71, v70
	v_div_fmas_f32 v49, v49, v51, v71
	v_div_fixup_f32 v49, v49, v44, 1.0
.LBB12_35:
	s_or_b64 exec, exec, s[0:1]
	v_cmp_o_f32_e32 vcc, v45, v45
	v_mov_b32_e32 v44, 0
	v_mov_b32_e32 v51, 0
	s_and_saveexec_b64 s[0:1], vcc
	s_cbranch_execz .LBB12_37
; %bb.36:
	v_mul_f32_e32 v51, 0xbfb8aa3b, v45
	s_mov_b32 s2, 0xbfb8aa3b
	v_rndne_f32_e32 v70, v51
	v_sub_f32_e32 v71, v51, v70
	v_fma_f32 v51, v45, s2, -v51
	v_fmac_f32_e32 v51, 0xb2a5705f, v45
	v_add_f32_e32 v51, v71, v51
	v_exp_f32_e32 v51, v51
	v_cvt_i32_f32_e32 v70, v70
	s_mov_b32 s2, 0x42ce8ed0
	v_cmp_nlt_f32_e32 vcc, s2, v45
	s_mov_b32 s2, 0xc2b17218
	v_ldexp_f32 v51, v51, v70
	v_cndmask_b32_e32 v51, 0, v51, vcc
	v_mov_b32_e32 v70, 0x7f800000
	v_cmp_ngt_f32_e32 vcc, s2, v45
	v_cndmask_b32_e32 v45, v70, v51, vcc
	v_add_f32_e32 v45, 1.0, v45
	v_div_scale_f32 v51, s[2:3], v45, v45, 1.0
	v_rcp_f32_e32 v70, v51
	v_fma_f32 v71, -v51, v70, 1.0
	v_fmac_f32_e32 v70, v71, v70
	v_div_scale_f32 v71, vcc, 1.0, v45, 1.0
	v_mul_f32_e32 v72, v71, v70
	v_fma_f32 v73, -v51, v72, v71
	v_fmac_f32_e32 v72, v73, v70
	v_fma_f32 v51, -v51, v72, v71
	v_div_fmas_f32 v51, v51, v70, v72
	v_div_fixup_f32 v51, v51, v45, 1.0
.LBB12_37:
	s_or_b64 exec, exec, s[0:1]
	v_cmp_o_f32_e32 vcc, v46, v46
	s_and_saveexec_b64 s[0:1], vcc
	s_cbranch_execz .LBB12_39
; %bb.38:
	v_mul_f32_e32 v44, 0xbfb8aa3b, v46
	s_mov_b32 s2, 0xbfb8aa3b
	v_rndne_f32_e32 v45, v44
	v_sub_f32_e32 v70, v44, v45
	v_fma_f32 v44, v46, s2, -v44
	v_fmac_f32_e32 v44, 0xb2a5705f, v46
	v_add_f32_e32 v44, v70, v44
	v_exp_f32_e32 v44, v44
	v_cvt_i32_f32_e32 v45, v45
	s_mov_b32 s2, 0x42ce8ed0
	v_cmp_nlt_f32_e32 vcc, s2, v46
	s_mov_b32 s2, 0xc2b17218
	v_ldexp_f32 v44, v44, v45
	v_cndmask_b32_e32 v44, 0, v44, vcc
	v_mov_b32_e32 v45, 0x7f800000
	v_cmp_ngt_f32_e32 vcc, s2, v46
	v_cndmask_b32_e32 v44, v45, v44, vcc
	v_add_f32_e32 v44, 1.0, v44
	v_div_scale_f32 v45, s[2:3], v44, v44, 1.0
	v_rcp_f32_e32 v46, v45
	v_fma_f32 v70, -v45, v46, 1.0
	v_fmac_f32_e32 v46, v70, v46
	v_div_scale_f32 v70, vcc, 1.0, v44, 1.0
	v_mul_f32_e32 v71, v70, v46
	v_fma_f32 v72, -v45, v71, v70
	v_fmac_f32_e32 v71, v72, v46
	v_fma_f32 v45, -v45, v71, v70
	v_div_fmas_f32 v45, v45, v46, v71
	v_div_fixup_f32 v44, v45, v44, 1.0
.LBB12_39:
	s_or_b64 exec, exec, s[0:1]
	v_cmp_o_f32_e32 vcc, v47, v47
	v_mov_b32_e32 v45, 0
	v_mov_b32_e32 v46, 0
	s_and_saveexec_b64 s[0:1], vcc
	s_cbranch_execz .LBB12_41
; %bb.40:
	v_mul_f32_e32 v46, 0xbfb8aa3b, v47
	s_mov_b32 s2, 0xbfb8aa3b
	v_rndne_f32_e32 v70, v46
	v_sub_f32_e32 v71, v46, v70
	v_fma_f32 v46, v47, s2, -v46
	v_fmac_f32_e32 v46, 0xb2a5705f, v47
	v_add_f32_e32 v46, v71, v46
	v_exp_f32_e32 v46, v46
	v_cvt_i32_f32_e32 v70, v70
	s_mov_b32 s2, 0x42ce8ed0
	v_cmp_nlt_f32_e32 vcc, s2, v47
	s_mov_b32 s2, 0xc2b17218
	v_ldexp_f32 v46, v46, v70
	v_cndmask_b32_e32 v46, 0, v46, vcc
	v_mov_b32_e32 v70, 0x7f800000
	v_cmp_ngt_f32_e32 vcc, s2, v47
	v_cndmask_b32_e32 v46, v70, v46, vcc
	v_add_f32_e32 v46, 1.0, v46
	v_div_scale_f32 v47, s[2:3], v46, v46, 1.0
	v_rcp_f32_e32 v70, v47
	v_fma_f32 v71, -v47, v70, 1.0
	v_fmac_f32_e32 v70, v71, v70
	v_div_scale_f32 v71, vcc, 1.0, v46, 1.0
	v_mul_f32_e32 v72, v71, v70
	v_fma_f32 v73, -v47, v72, v71
	v_fmac_f32_e32 v72, v73, v70
	v_fma_f32 v47, -v47, v72, v71
	v_div_fmas_f32 v47, v47, v70, v72
	v_div_fixup_f32 v46, v47, v46, 1.0
.LBB12_41:
	s_or_b64 exec, exec, s[0:1]
	v_cmp_o_f32_e32 vcc, v40, v40
	s_and_saveexec_b64 s[0:1], vcc
	s_cbranch_execz .LBB12_43
; %bb.42:
	v_mul_f32_e32 v45, 0xbfb8aa3b, v40
	s_mov_b32 s2, 0xbfb8aa3b
	v_rndne_f32_e32 v47, v45
	v_sub_f32_e32 v70, v45, v47
	v_fma_f32 v45, v40, s2, -v45
	v_fmac_f32_e32 v45, 0xb2a5705f, v40
	v_add_f32_e32 v45, v70, v45
	v_exp_f32_e32 v45, v45
	v_cvt_i32_f32_e32 v47, v47
	s_mov_b32 s2, 0x42ce8ed0
	v_cmp_nlt_f32_e32 vcc, s2, v40
	s_mov_b32 s2, 0xc2b17218
	v_ldexp_f32 v45, v45, v47
	v_cndmask_b32_e32 v45, 0, v45, vcc
	v_mov_b32_e32 v47, 0x7f800000
	v_cmp_ngt_f32_e32 vcc, s2, v40
	v_cndmask_b32_e32 v40, v47, v45, vcc
	v_add_f32_e32 v40, 1.0, v40
	v_div_scale_f32 v45, s[2:3], v40, v40, 1.0
	v_rcp_f32_e32 v47, v45
	v_fma_f32 v70, -v45, v47, 1.0
	v_fmac_f32_e32 v47, v70, v47
	v_div_scale_f32 v70, vcc, 1.0, v40, 1.0
	v_mul_f32_e32 v71, v70, v47
	v_fma_f32 v72, -v45, v71, v70
	v_fmac_f32_e32 v71, v72, v47
	v_fma_f32 v45, -v45, v71, v70
	v_div_fmas_f32 v45, v45, v47, v71
	v_div_fixup_f32 v45, v45, v40, 1.0
.LBB12_43:
	s_or_b64 exec, exec, s[0:1]
	v_cmp_o_f32_e32 vcc, v41, v41
	v_mov_b32_e32 v40, 0
	v_mov_b32_e32 v47, 0
	s_and_saveexec_b64 s[0:1], vcc
	s_cbranch_execz .LBB12_45
; %bb.44:
	v_mul_f32_e32 v47, 0xbfb8aa3b, v41
	s_mov_b32 s2, 0xbfb8aa3b
	v_rndne_f32_e32 v70, v47
	v_sub_f32_e32 v71, v47, v70
	v_fma_f32 v47, v41, s2, -v47
	v_fmac_f32_e32 v47, 0xb2a5705f, v41
	v_add_f32_e32 v47, v71, v47
	v_exp_f32_e32 v47, v47
	v_cvt_i32_f32_e32 v70, v70
	s_mov_b32 s2, 0x42ce8ed0
	v_cmp_nlt_f32_e32 vcc, s2, v41
	s_mov_b32 s2, 0xc2b17218
	v_ldexp_f32 v47, v47, v70
	v_cndmask_b32_e32 v47, 0, v47, vcc
	v_mov_b32_e32 v70, 0x7f800000
	v_cmp_ngt_f32_e32 vcc, s2, v41
	v_cndmask_b32_e32 v41, v70, v47, vcc
	v_add_f32_e32 v41, 1.0, v41
	v_div_scale_f32 v47, s[2:3], v41, v41, 1.0
	v_rcp_f32_e32 v70, v47
	v_fma_f32 v71, -v47, v70, 1.0
	v_fmac_f32_e32 v70, v71, v70
	v_div_scale_f32 v71, vcc, 1.0, v41, 1.0
	v_mul_f32_e32 v72, v71, v70
	v_fma_f32 v73, -v47, v72, v71
	v_fmac_f32_e32 v72, v73, v70
	v_fma_f32 v47, -v47, v72, v71
	v_div_fmas_f32 v47, v47, v70, v72
	v_div_fixup_f32 v47, v47, v41, 1.0
.LBB12_45:
	s_or_b64 exec, exec, s[0:1]
	v_cmp_o_f32_e32 vcc, v42, v42
	s_and_saveexec_b64 s[0:1], vcc
	s_cbranch_execz .LBB12_47
; %bb.46:
	v_mul_f32_e32 v40, 0xbfb8aa3b, v42
	s_mov_b32 s2, 0xbfb8aa3b
	v_rndne_f32_e32 v41, v40
	v_sub_f32_e32 v70, v40, v41
	v_fma_f32 v40, v42, s2, -v40
	v_fmac_f32_e32 v40, 0xb2a5705f, v42
	v_add_f32_e32 v40, v70, v40
	v_exp_f32_e32 v40, v40
	v_cvt_i32_f32_e32 v41, v41
	s_mov_b32 s2, 0x42ce8ed0
	v_cmp_nlt_f32_e32 vcc, s2, v42
	s_mov_b32 s2, 0xc2b17218
	v_ldexp_f32 v40, v40, v41
	v_cndmask_b32_e32 v40, 0, v40, vcc
	v_mov_b32_e32 v41, 0x7f800000
	v_cmp_ngt_f32_e32 vcc, s2, v42
	v_cndmask_b32_e32 v40, v41, v40, vcc
	v_add_f32_e32 v40, 1.0, v40
	v_div_scale_f32 v41, s[2:3], v40, v40, 1.0
	v_rcp_f32_e32 v42, v41
	v_fma_f32 v70, -v41, v42, 1.0
	v_fmac_f32_e32 v42, v70, v42
	v_div_scale_f32 v70, vcc, 1.0, v40, 1.0
	v_mul_f32_e32 v71, v70, v42
	v_fma_f32 v72, -v41, v71, v70
	v_fmac_f32_e32 v71, v72, v42
	v_fma_f32 v41, -v41, v71, v70
	v_div_fmas_f32 v41, v41, v42, v71
	v_div_fixup_f32 v40, v41, v40, 1.0
.LBB12_47:
	s_or_b64 exec, exec, s[0:1]
	v_cmp_o_f32_e32 vcc, v43, v43
	v_mov_b32_e32 v41, 0
	v_mov_b32_e32 v42, 0
	s_and_saveexec_b64 s[0:1], vcc
	s_cbranch_execz .LBB12_49
; %bb.48:
	v_mul_f32_e32 v42, 0xbfb8aa3b, v43
	s_mov_b32 s2, 0xbfb8aa3b
	v_rndne_f32_e32 v70, v42
	v_sub_f32_e32 v71, v42, v70
	v_fma_f32 v42, v43, s2, -v42
	v_fmac_f32_e32 v42, 0xb2a5705f, v43
	v_add_f32_e32 v42, v71, v42
	v_exp_f32_e32 v42, v42
	v_cvt_i32_f32_e32 v70, v70
	s_mov_b32 s2, 0x42ce8ed0
	v_cmp_nlt_f32_e32 vcc, s2, v43
	s_mov_b32 s2, 0xc2b17218
	v_ldexp_f32 v42, v42, v70
	v_cndmask_b32_e32 v42, 0, v42, vcc
	v_mov_b32_e32 v70, 0x7f800000
	v_cmp_ngt_f32_e32 vcc, s2, v43
	v_cndmask_b32_e32 v42, v70, v42, vcc
	v_add_f32_e32 v42, 1.0, v42
	v_div_scale_f32 v43, s[2:3], v42, v42, 1.0
	v_rcp_f32_e32 v70, v43
	v_fma_f32 v71, -v43, v70, 1.0
	v_fmac_f32_e32 v70, v71, v70
	v_div_scale_f32 v71, vcc, 1.0, v42, 1.0
	v_mul_f32_e32 v72, v71, v70
	v_fma_f32 v73, -v43, v72, v71
	v_fmac_f32_e32 v72, v73, v70
	v_fma_f32 v43, -v43, v72, v71
	v_div_fmas_f32 v43, v43, v70, v72
	v_div_fixup_f32 v42, v43, v42, 1.0
.LBB12_49:
	s_or_b64 exec, exec, s[0:1]
	v_cmp_o_f32_e32 vcc, v36, v36
	s_and_saveexec_b64 s[0:1], vcc
	s_cbranch_execz .LBB12_51
; %bb.50:
	v_mul_f32_e32 v41, 0xbfb8aa3b, v36
	s_mov_b32 s2, 0xbfb8aa3b
	v_rndne_f32_e32 v43, v41
	v_sub_f32_e32 v70, v41, v43
	v_fma_f32 v41, v36, s2, -v41
	v_fmac_f32_e32 v41, 0xb2a5705f, v36
	v_add_f32_e32 v41, v70, v41
	v_exp_f32_e32 v41, v41
	v_cvt_i32_f32_e32 v43, v43
	s_mov_b32 s2, 0x42ce8ed0
	v_cmp_nlt_f32_e32 vcc, s2, v36
	s_mov_b32 s2, 0xc2b17218
	v_ldexp_f32 v41, v41, v43
	v_cndmask_b32_e32 v41, 0, v41, vcc
	v_mov_b32_e32 v43, 0x7f800000
	v_cmp_ngt_f32_e32 vcc, s2, v36
	v_cndmask_b32_e32 v36, v43, v41, vcc
	v_add_f32_e32 v36, 1.0, v36
	v_div_scale_f32 v41, s[2:3], v36, v36, 1.0
	v_rcp_f32_e32 v43, v41
	v_fma_f32 v70, -v41, v43, 1.0
	v_fmac_f32_e32 v43, v70, v43
	v_div_scale_f32 v70, vcc, 1.0, v36, 1.0
	v_mul_f32_e32 v71, v70, v43
	v_fma_f32 v72, -v41, v71, v70
	v_fmac_f32_e32 v71, v72, v43
	v_fma_f32 v41, -v41, v71, v70
	v_div_fmas_f32 v41, v41, v43, v71
	v_div_fixup_f32 v41, v41, v36, 1.0
.LBB12_51:
	s_or_b64 exec, exec, s[0:1]
	v_cmp_o_f32_e32 vcc, v37, v37
	v_mov_b32_e32 v36, 0
	v_mov_b32_e32 v43, 0
	s_and_saveexec_b64 s[0:1], vcc
	s_cbranch_execz .LBB12_53
; %bb.52:
	v_mul_f32_e32 v43, 0xbfb8aa3b, v37
	s_mov_b32 s2, 0xbfb8aa3b
	v_rndne_f32_e32 v70, v43
	v_sub_f32_e32 v71, v43, v70
	v_fma_f32 v43, v37, s2, -v43
	v_fmac_f32_e32 v43, 0xb2a5705f, v37
	v_add_f32_e32 v43, v71, v43
	v_exp_f32_e32 v43, v43
	v_cvt_i32_f32_e32 v70, v70
	s_mov_b32 s2, 0x42ce8ed0
	v_cmp_nlt_f32_e32 vcc, s2, v37
	s_mov_b32 s2, 0xc2b17218
	v_ldexp_f32 v43, v43, v70
	v_cndmask_b32_e32 v43, 0, v43, vcc
	v_mov_b32_e32 v70, 0x7f800000
	v_cmp_ngt_f32_e32 vcc, s2, v37
	v_cndmask_b32_e32 v37, v70, v43, vcc
	v_add_f32_e32 v37, 1.0, v37
	v_div_scale_f32 v43, s[2:3], v37, v37, 1.0
	v_rcp_f32_e32 v70, v43
	v_fma_f32 v71, -v43, v70, 1.0
	v_fmac_f32_e32 v70, v71, v70
	v_div_scale_f32 v71, vcc, 1.0, v37, 1.0
	v_mul_f32_e32 v72, v71, v70
	v_fma_f32 v73, -v43, v72, v71
	v_fmac_f32_e32 v72, v73, v70
	v_fma_f32 v43, -v43, v72, v71
	v_div_fmas_f32 v43, v43, v70, v72
	v_div_fixup_f32 v43, v43, v37, 1.0
.LBB12_53:
	s_or_b64 exec, exec, s[0:1]
	v_cmp_o_f32_e32 vcc, v38, v38
	s_and_saveexec_b64 s[0:1], vcc
	s_cbranch_execz .LBB12_55
; %bb.54:
	v_mul_f32_e32 v36, 0xbfb8aa3b, v38
	s_mov_b32 s2, 0xbfb8aa3b
	v_rndne_f32_e32 v37, v36
	v_sub_f32_e32 v70, v36, v37
	v_fma_f32 v36, v38, s2, -v36
	v_fmac_f32_e32 v36, 0xb2a5705f, v38
	v_add_f32_e32 v36, v70, v36
	v_exp_f32_e32 v36, v36
	v_cvt_i32_f32_e32 v37, v37
	s_mov_b32 s2, 0x42ce8ed0
	v_cmp_nlt_f32_e32 vcc, s2, v38
	s_mov_b32 s2, 0xc2b17218
	v_ldexp_f32 v36, v36, v37
	v_cndmask_b32_e32 v36, 0, v36, vcc
	v_mov_b32_e32 v37, 0x7f800000
	v_cmp_ngt_f32_e32 vcc, s2, v38
	v_cndmask_b32_e32 v36, v37, v36, vcc
	v_add_f32_e32 v36, 1.0, v36
	v_div_scale_f32 v37, s[2:3], v36, v36, 1.0
	v_rcp_f32_e32 v38, v37
	v_fma_f32 v70, -v37, v38, 1.0
	v_fmac_f32_e32 v38, v70, v38
	v_div_scale_f32 v70, vcc, 1.0, v36, 1.0
	v_mul_f32_e32 v71, v70, v38
	v_fma_f32 v72, -v37, v71, v70
	v_fmac_f32_e32 v71, v72, v38
	v_fma_f32 v37, -v37, v71, v70
	v_div_fmas_f32 v37, v37, v38, v71
	v_div_fixup_f32 v36, v37, v36, 1.0
.LBB12_55:
	s_or_b64 exec, exec, s[0:1]
	v_cmp_o_f32_e32 vcc, v39, v39
	v_mov_b32_e32 v37, 0
	v_mov_b32_e32 v38, 0
	s_and_saveexec_b64 s[0:1], vcc
	s_cbranch_execz .LBB12_57
; %bb.56:
	v_mul_f32_e32 v38, 0xbfb8aa3b, v39
	s_mov_b32 s2, 0xbfb8aa3b
	v_rndne_f32_e32 v70, v38
	v_sub_f32_e32 v71, v38, v70
	v_fma_f32 v38, v39, s2, -v38
	v_fmac_f32_e32 v38, 0xb2a5705f, v39
	v_add_f32_e32 v38, v71, v38
	v_exp_f32_e32 v38, v38
	v_cvt_i32_f32_e32 v70, v70
	s_mov_b32 s2, 0x42ce8ed0
	v_cmp_nlt_f32_e32 vcc, s2, v39
	s_mov_b32 s2, 0xc2b17218
	v_ldexp_f32 v38, v38, v70
	v_cndmask_b32_e32 v38, 0, v38, vcc
	v_mov_b32_e32 v70, 0x7f800000
	v_cmp_ngt_f32_e32 vcc, s2, v39
	v_cndmask_b32_e32 v38, v70, v38, vcc
	v_add_f32_e32 v38, 1.0, v38
	v_div_scale_f32 v39, s[2:3], v38, v38, 1.0
	v_rcp_f32_e32 v70, v39
	v_fma_f32 v71, -v39, v70, 1.0
	v_fmac_f32_e32 v70, v71, v70
	v_div_scale_f32 v71, vcc, 1.0, v38, 1.0
	v_mul_f32_e32 v72, v71, v70
	v_fma_f32 v73, -v39, v72, v71
	v_fmac_f32_e32 v72, v73, v70
	v_fma_f32 v39, -v39, v72, v71
	v_div_fmas_f32 v39, v39, v70, v72
	v_div_fixup_f32 v38, v39, v38, 1.0
.LBB12_57:
	s_or_b64 exec, exec, s[0:1]
	v_cmp_o_f32_e32 vcc, v32, v32
	s_and_saveexec_b64 s[0:1], vcc
	s_cbranch_execz .LBB12_59
; %bb.58:
	v_mul_f32_e32 v37, 0xbfb8aa3b, v32
	s_mov_b32 s2, 0xbfb8aa3b
	v_rndne_f32_e32 v39, v37
	v_sub_f32_e32 v70, v37, v39
	v_fma_f32 v37, v32, s2, -v37
	v_fmac_f32_e32 v37, 0xb2a5705f, v32
	v_add_f32_e32 v37, v70, v37
	v_exp_f32_e32 v37, v37
	v_cvt_i32_f32_e32 v39, v39
	s_mov_b32 s2, 0x42ce8ed0
	v_cmp_nlt_f32_e32 vcc, s2, v32
	s_mov_b32 s2, 0xc2b17218
	v_ldexp_f32 v37, v37, v39
	v_cndmask_b32_e32 v37, 0, v37, vcc
	v_mov_b32_e32 v39, 0x7f800000
	v_cmp_ngt_f32_e32 vcc, s2, v32
	v_cndmask_b32_e32 v32, v39, v37, vcc
	v_add_f32_e32 v32, 1.0, v32
	v_div_scale_f32 v37, s[2:3], v32, v32, 1.0
	v_rcp_f32_e32 v39, v37
	v_fma_f32 v70, -v37, v39, 1.0
	v_fmac_f32_e32 v39, v70, v39
	v_div_scale_f32 v70, vcc, 1.0, v32, 1.0
	v_mul_f32_e32 v71, v70, v39
	v_fma_f32 v72, -v37, v71, v70
	v_fmac_f32_e32 v71, v72, v39
	v_fma_f32 v37, -v37, v71, v70
	v_div_fmas_f32 v37, v37, v39, v71
	v_div_fixup_f32 v37, v37, v32, 1.0
.LBB12_59:
	s_or_b64 exec, exec, s[0:1]
	v_cmp_o_f32_e32 vcc, v33, v33
	v_mov_b32_e32 v32, 0
	v_mov_b32_e32 v39, 0
	s_and_saveexec_b64 s[0:1], vcc
	s_cbranch_execz .LBB12_61
; %bb.60:
	v_mul_f32_e32 v39, 0xbfb8aa3b, v33
	s_mov_b32 s2, 0xbfb8aa3b
	v_rndne_f32_e32 v70, v39
	v_sub_f32_e32 v71, v39, v70
	v_fma_f32 v39, v33, s2, -v39
	v_fmac_f32_e32 v39, 0xb2a5705f, v33
	v_add_f32_e32 v39, v71, v39
	v_exp_f32_e32 v39, v39
	v_cvt_i32_f32_e32 v70, v70
	s_mov_b32 s2, 0x42ce8ed0
	v_cmp_nlt_f32_e32 vcc, s2, v33
	s_mov_b32 s2, 0xc2b17218
	v_ldexp_f32 v39, v39, v70
	v_cndmask_b32_e32 v39, 0, v39, vcc
	v_mov_b32_e32 v70, 0x7f800000
	v_cmp_ngt_f32_e32 vcc, s2, v33
	v_cndmask_b32_e32 v33, v70, v39, vcc
	v_add_f32_e32 v33, 1.0, v33
	v_div_scale_f32 v39, s[2:3], v33, v33, 1.0
	v_rcp_f32_e32 v70, v39
	v_fma_f32 v71, -v39, v70, 1.0
	v_fmac_f32_e32 v70, v71, v70
	v_div_scale_f32 v71, vcc, 1.0, v33, 1.0
	v_mul_f32_e32 v72, v71, v70
	v_fma_f32 v73, -v39, v72, v71
	v_fmac_f32_e32 v72, v73, v70
	v_fma_f32 v39, -v39, v72, v71
	v_div_fmas_f32 v39, v39, v70, v72
	v_div_fixup_f32 v39, v39, v33, 1.0
.LBB12_61:
	s_or_b64 exec, exec, s[0:1]
	v_cmp_o_f32_e32 vcc, v34, v34
	s_and_saveexec_b64 s[0:1], vcc
	s_cbranch_execz .LBB12_63
; %bb.62:
	v_mul_f32_e32 v32, 0xbfb8aa3b, v34
	s_mov_b32 s2, 0xbfb8aa3b
	v_rndne_f32_e32 v33, v32
	v_sub_f32_e32 v70, v32, v33
	v_fma_f32 v32, v34, s2, -v32
	v_fmac_f32_e32 v32, 0xb2a5705f, v34
	v_add_f32_e32 v32, v70, v32
	v_exp_f32_e32 v32, v32
	v_cvt_i32_f32_e32 v33, v33
	s_mov_b32 s2, 0x42ce8ed0
	v_cmp_nlt_f32_e32 vcc, s2, v34
	s_mov_b32 s2, 0xc2b17218
	v_ldexp_f32 v32, v32, v33
	v_cndmask_b32_e32 v32, 0, v32, vcc
	v_mov_b32_e32 v33, 0x7f800000
	v_cmp_ngt_f32_e32 vcc, s2, v34
	v_cndmask_b32_e32 v32, v33, v32, vcc
	v_add_f32_e32 v32, 1.0, v32
	v_div_scale_f32 v33, s[2:3], v32, v32, 1.0
	v_rcp_f32_e32 v34, v33
	v_fma_f32 v70, -v33, v34, 1.0
	v_fmac_f32_e32 v34, v70, v34
	v_div_scale_f32 v70, vcc, 1.0, v32, 1.0
	v_mul_f32_e32 v71, v70, v34
	v_fma_f32 v72, -v33, v71, v70
	v_fmac_f32_e32 v71, v72, v34
	v_fma_f32 v33, -v33, v71, v70
	v_div_fmas_f32 v33, v33, v34, v71
	v_div_fixup_f32 v32, v33, v32, 1.0
.LBB12_63:
	s_or_b64 exec, exec, s[0:1]
	v_cmp_o_f32_e32 vcc, v35, v35
	v_mov_b32_e32 v33, 0
	s_and_saveexec_b64 s[0:1], vcc
	s_cbranch_execz .LBB12_65
; %bb.64:
	v_mul_f32_e32 v33, 0xbfb8aa3b, v35
	s_mov_b32 s2, 0xbfb8aa3b
	v_rndne_f32_e32 v34, v33
	v_sub_f32_e32 v70, v33, v34
	v_fma_f32 v33, v35, s2, -v33
	v_fmac_f32_e32 v33, 0xb2a5705f, v35
	v_add_f32_e32 v33, v70, v33
	v_exp_f32_e32 v33, v33
	v_cvt_i32_f32_e32 v34, v34
	s_mov_b32 s2, 0x42ce8ed0
	v_cmp_nlt_f32_e32 vcc, s2, v35
	s_mov_b32 s2, 0xc2b17218
	v_ldexp_f32 v33, v33, v34
	v_cndmask_b32_e32 v33, 0, v33, vcc
	v_mov_b32_e32 v34, 0x7f800000
	v_cmp_ngt_f32_e32 vcc, s2, v35
	v_cndmask_b32_e32 v33, v34, v33, vcc
	v_add_f32_e32 v33, 1.0, v33
	v_div_scale_f32 v34, s[2:3], v33, v33, 1.0
	v_rcp_f32_e32 v35, v34
	v_fma_f32 v70, -v34, v35, 1.0
	v_fmac_f32_e32 v35, v70, v35
	v_div_scale_f32 v70, vcc, 1.0, v33, 1.0
	v_mul_f32_e32 v71, v70, v35
	v_fma_f32 v72, -v34, v71, v70
	v_fmac_f32_e32 v71, v72, v35
	v_fma_f32 v34, -v34, v71, v70
	v_div_fmas_f32 v34, v34, v35, v71
	v_div_fixup_f32 v33, v34, v33, 1.0
.LBB12_65:
	s_or_b64 exec, exec, s[0:1]
	s_waitcnt vmcnt(0)
	v_add_f32_e32 v28, v28, v67
	v_add_f32_e32 v29, v29, v68
	v_max_f32_e32 v70, 0xff7fffff, v28
	s_mov_b32 s2, 0xff7fffff
	v_cmp_ngt_f32_e32 vcc, v29, v70
	v_mov_b32_e32 v34, v70
	v_mov_b32_e32 v35, v29
	s_and_saveexec_b64 s[0:1], vcc
	s_cbranch_execz .LBB12_69
; %bb.66:
	v_cmp_lt_f32_e32 vcc, s2, v29
	v_mov_b32_e32 v34, 0xff7fffff
	s_and_saveexec_b64 s[2:3], vcc
; %bb.67:
	v_mov_b32_e32 v34, v29
; %bb.68:
	s_or_b64 exec, exec, s[2:3]
	v_mov_b32_e32 v35, v70
.LBB12_69:
	s_or_b64 exec, exec, s[0:1]
	v_add_f32_e32 v30, v30, v60
	v_cmp_ngt_f32_e32 vcc, v30, v35
	v_mov_b32_e32 v71, v35
	v_mov_b32_e32 v70, v30
	s_and_saveexec_b64 s[0:1], vcc
	s_cbranch_execz .LBB12_73
; %bb.70:
	v_cmp_gt_f32_e32 vcc, v30, v34
	s_and_saveexec_b64 s[2:3], vcc
; %bb.71:
	v_mov_b32_e32 v34, v30
; %bb.72:
	s_or_b64 exec, exec, s[2:3]
	v_mov_b32_e32 v71, v34
	v_mov_b32_e32 v70, v35
.LBB12_73:
	s_or_b64 exec, exec, s[0:1]
	v_add_f32_e32 v31, v31, v62
	v_cmp_ngt_f32_e32 vcc, v31, v70
	v_mov_b32_e32 v72, v70
	v_mov_b32_e32 v34, v31
	s_and_saveexec_b64 s[0:1], vcc
	s_cbranch_execz .LBB12_77
; %bb.74:
	v_cmp_gt_f32_e32 vcc, v31, v71
	s_and_saveexec_b64 s[2:3], vcc
; %bb.75:
	v_mov_b32_e32 v71, v31
; %bb.76:
	s_or_b64 exec, exec, s[2:3]
	v_mov_b32_e32 v72, v71
	v_mov_b32_e32 v34, v70
.LBB12_77:
	;; [unrolled: 17-line block ×30, first 2 shown]
	s_or_b64 exec, exec, s[0:1]
	v_cmp_lt_i64_e64 s[0:1], s[74:75], 4
	v_lshlrev_b32_e32 v75, 5, v66
	s_and_b64 vcc, exec, s[0:1]
	s_cbranch_vccz .LBB12_192
; %bb.190:
	s_sub_u32 s6, 4, s74
	s_subb_u32 s7, 0, s75
	v_add_f32_e32 v0, v1, v3
	s_mov_b64 s[8:9], 0
	v_mov_b32_e32 v1, 0x7f7fffff
.LBB12_191:                             ; =>This Inner Loop Header: Depth=1
	v_mov_b32_dpp v2, v75 quad_perm:[1,0,3,2] row_mask:0xf bank_mask:0xf
	v_mov_b32_dpp v3, v0 quad_perm:[1,0,3,2] row_mask:0xf bank_mask:0xf
	v_cmp_eq_f32_e64 s[0:1], v0, v3
	v_cmp_lt_i32_e64 s[2:3], v75, v2
	v_cmp_lt_f32_e32 vcc, v0, v3
	s_and_b64 s[0:1], s[2:3], s[0:1]
	s_or_b64 vcc, vcc, s[0:1]
	v_cndmask_b32_e32 v3, v3, v0, vcc
	v_cndmask_b32_e32 v2, v2, v75, vcc
	s_add_u32 s8, s8, 1
	v_mov_b32_dpp v7, v3 quad_perm:[2,3,0,1] row_mask:0xf bank_mask:0xf
	v_mov_b32_dpp v6, v2 quad_perm:[2,3,0,1] row_mask:0xf bank_mask:0xf
	v_min_i32_e32 v19, v2, v6
	v_cmp_eq_f32_e32 vcc, v3, v7
	v_cndmask_b32_e32 v6, v6, v19, vcc
	v_cmp_lt_f32_e32 vcc, v3, v7
	v_cndmask_b32_e32 v2, v6, v2, vcc
	v_ashrrev_i32_e32 v3, 31, v2
	v_lshrrev_b32_e32 v3, 27, v3
	v_add_u32_e32 v2, v2, v3
	v_ashrrev_i32_e32 v2, 5, v2
	s_addc_u32 s9, s9, 0
	v_cmp_eq_u32_e32 vcc, v66, v2
	v_pk_mov_b32 v[2:3], s[8:9], s[8:9] op_sel:[0,1]
	v_cndmask_b32_e32 v28, v28, v1, vcc
	v_cndmask_b32_e32 v0, v0, v1, vcc
	v_cmp_le_i64_e32 vcc, s[6:7], v[2:3]
	s_cbranch_vccz .LBB12_191
.LBB12_192:
	s_sub_u32 s72, s76, s78
	s_subb_u32 s73, s77, s79
	s_mov_b64 s[0:1], src_shared_base
	s_cmp_lg_u32 0, -1
	s_cselect_b32 s0, s1, 0
	s_cselect_b32 s1, 0, 0
	s_add_u32 s1, s1, 0xff
	s_addc_u32 s0, s0, 0
	s_and_b32 s1, s1, 0xffffff00
	v_mov_b32_e32 v0, s1
	v_mov_b32_e32 v1, s0
	v_and_b32_e32 v2, 0x3fc, v69
	v_mad_u64_u32 v[6:7], s[0:1], v2, s76, v[0:1]
	s_load_dword s33, s[4:5], 0x48
	v_mov_b32_e32 v0, v7
	v_mad_u64_u32 v[0:1], s[0:1], v2, s77, v[0:1]
	v_cmp_lt_i64_e64 s[0:1], s[72:73], 1
	v_mov_b32_e32 v7, v0
	s_and_b64 vcc, exec, s[0:1]
	v_cmp_eq_u32_e64 s[0:1], 0, v66
	s_cbranch_vccnz .LBB12_203
; %bb.193:
	s_waitcnt lgkmcnt(0)
	v_mad_u64_u32 v[0:1], s[2:3], s33, v64, 0
	s_ashr_i32 s6, s33, 31
	v_mov_b32_e32 v2, v1
	v_mad_u64_u32 v[2:3], s[2:3], s6, v64, v[2:3]
	v_mov_b32_e32 v1, v2
	v_lshlrev_b64 v[0:1], 2, v[0:1]
	v_mov_b32_e32 v2, s71
	v_add_co_u32_e32 v0, vcc, s70, v0
	v_addc_co_u32_e32 v1, vcc, v2, v1, vcc
	v_mul_u32_u24_e32 v69, 32, v66
	s_mov_b64 s[74:75], 0
	v_mov_b32_e32 v19, 0
	s_mov_b32 s84, 0x7f7fffff
	v_mov_b32_e32 v76, 0xff7fffff
	v_pk_mov_b32 v[2:3], v[6:7], v[6:7] op_sel:[0,1]
	s_branch .LBB12_195
.LBB12_194:                             ;   in Loop: Header=BB12_195 Depth=1
	s_or_b64 exec, exec, s[2:3]
	v_add_co_u32_e32 v0, vcc, 4, v0
	s_add_u32 s74, s74, 1
	v_addc_co_u32_e32 v1, vcc, 0, v1, vcc
	s_addc_u32 s75, s75, 0
	v_add_co_u32_e32 v2, vcc, 4, v2
	v_addc_co_u32_e32 v3, vcc, 0, v3, vcc
	v_pk_mov_b32 v[78:79], s[74:75], s[74:75] op_sel:[0,1]
	v_cmp_le_i64_e32 vcc, s[72:73], v[78:79]
	s_cbranch_vccnz .LBB12_204
.LBB12_195:                             ; =>This Inner Loop Header: Depth=1
	v_cmp_neq_f32_e32 vcc, s84, v28
	v_mov_b32_e32 v77, 0xff7fffff
	v_mov_b32_e32 v78, v75
	s_and_saveexec_b64 s[2:3], vcc
	s_cbranch_execz .LBB12_197
; %bb.196:                              ;   in Loop: Header=BB12_195 Depth=1
	v_cmp_gt_f32_e32 vcc, v29, v28
	v_cndmask_b32_e32 v77, v28, v29, vcc
	v_cndmask_b32_e64 v78, 0, 1, vcc
	v_cmp_gt_f32_e32 vcc, v30, v77
	v_cndmask_b32_e32 v77, v77, v30, vcc
	v_cndmask_b32_e64 v78, v78, 2, vcc
	;; [unrolled: 3-line block ×30, first 2 shown]
	v_cmp_gt_f32_e32 vcc, v74, v77
	v_cndmask_b32_e64 v78, v78, 31, vcc
	v_cndmask_b32_e32 v77, v77, v74, vcc
	v_or_b32_e32 v78, v78, v75
.LBB12_197:                             ;   in Loop: Header=BB12_195 Depth=1
	s_or_b64 exec, exec, s[2:3]
	s_nop 0
	v_mov_b32_dpp v79, v78 quad_perm:[1,0,3,2] row_mask:0xf bank_mask:0xf
	v_mov_b32_dpp v80, v77 quad_perm:[1,0,3,2] row_mask:0xf bank_mask:0xf
	v_cmp_eq_f32_e64 s[2:3], v77, v80
	v_cmp_lt_i32_e64 s[6:7], v78, v79
	v_cmp_gt_f32_e32 vcc, v77, v80
	s_and_b64 s[2:3], s[2:3], s[6:7]
	s_or_b64 vcc, vcc, s[2:3]
	v_cndmask_b32_e32 v77, v80, v77, vcc
	v_cndmask_b32_e32 v78, v79, v78, vcc
	s_nop 0
	v_mov_b32_dpp v80, v77 quad_perm:[2,3,0,1] row_mask:0xf bank_mask:0xf
	v_mov_b32_dpp v79, v78 quad_perm:[2,3,0,1] row_mask:0xf bank_mask:0xf
	v_min_i32_e32 v81, v78, v79
	v_cmp_eq_f32_e32 vcc, v77, v80
	v_cndmask_b32_e32 v79, v79, v81, vcc
	v_cmp_gt_f32_e32 vcc, v77, v80
	v_cndmask_b32_e32 v77, v79, v78, vcc
	v_ashrrev_i32_e32 v78, 31, v77
	v_lshrrev_b32_e32 v78, 27, v78
	v_add_u32_e32 v78, v77, v78
	v_ashrrev_i32_e32 v78, 5, v78
	v_cmp_eq_u32_e32 vcc, v66, v78
	s_and_saveexec_b64 s[80:81], vcc
	s_cbranch_execz .LBB12_201
; %bb.198:                              ;   in Loop: Header=BB12_195 Depth=1
	v_sub_u32_e32 v78, v77, v69
	v_cmp_eq_u32_e32 vcc, 1, v78
	v_cmp_eq_u32_e64 s[2:3], 2, v78
	v_cmp_eq_u32_e64 s[6:7], 3, v78
	;; [unrolled: 1-line block ×30, first 2 shown]
	v_cmp_gt_u32_e64 s[66:67], 32, v78
	s_and_saveexec_b64 s[82:83], s[66:67]
	s_cbranch_execz .LBB12_200
; %bb.199:                              ;   in Loop: Header=BB12_195 Depth=1
	v_cndmask_b32_e32 v79, v67, v68, vcc
	v_cndmask_b32_e64 v79, v79, v60, s[2:3]
	v_cndmask_b32_e64 v79, v79, v62, s[6:7]
	;; [unrolled: 1-line block ×30, first 2 shown]
	flat_store_dword v[2:3], v79
.LBB12_200:                             ;   in Loop: Header=BB12_195 Depth=1
	s_or_b64 exec, exec, s[82:83]
	v_cmp_ne_u32_e64 s[66:67], 0, v78
	v_cndmask_b32_e64 v28, v76, v28, s[66:67]
	v_cndmask_b32_e32 v29, v29, v76, vcc
	v_cndmask_b32_e64 v30, v30, v76, s[2:3]
	v_cndmask_b32_e64 v31, v31, v76, s[6:7]
	;; [unrolled: 1-line block ×30, first 2 shown]
	global_store_dword v[0:1], v77, off
.LBB12_201:                             ;   in Loop: Header=BB12_195 Depth=1
	s_or_b64 exec, exec, s[80:81]
	s_waitcnt lgkmcnt(0)
	s_barrier
	s_and_saveexec_b64 s[2:3], s[0:1]
	s_cbranch_execz .LBB12_194
; %bb.202:                              ;   in Loop: Header=BB12_195 Depth=1
	flat_load_dword v77, v[2:3]
	s_waitcnt vmcnt(0) lgkmcnt(0)
	v_add_f32_e32 v19, v19, v77
	s_branch .LBB12_194
.LBB12_203:
	v_mov_b32_e32 v19, 0
.LBB12_204:
	v_cmp_eq_u32_e64 s[0:1], 0, v66
	v_cmp_gt_i64_e64 s[2:3], s[78:79], 0
	s_and_b64 s[6:7], s[0:1], s[2:3]
	s_and_saveexec_b64 s[2:3], s[6:7]
	s_cbranch_execz .LBB12_217
; %bb.205:
	v_cmp_le_u64_e32 vcc, s[78:79], v[64:65]
	v_pk_mov_b32 v[0:1], v[64:65], v[64:65] op_sel:[0,1]
	s_and_saveexec_b64 s[6:7], vcc
	s_cbranch_execz .LBB12_207
; %bb.206:
	v_cvt_f32_u32_e32 v0, s78
	s_sub_i32 s8, 0, s78
	v_rcp_iflag_f32_e32 v0, v0
	v_mul_f32_e32 v0, 0x4f7ffffe, v0
	v_cvt_u32_f32_e32 v0, v0
	v_mul_lo_u32 v1, s8, v0
	v_mul_hi_u32 v1, v0, v1
	v_add_u32_e32 v0, v0, v1
	v_mul_hi_u32 v0, v64, v0
	v_mul_lo_u32 v0, v0, s78
	v_sub_u32_e32 v0, v64, v0
	v_subrev_u32_e32 v1, s78, v0
	v_cmp_le_u32_e32 vcc, s78, v0
	v_cndmask_b32_e32 v0, v0, v1, vcc
	v_subrev_u32_e32 v1, s78, v0
	v_cmp_le_u32_e32 vcc, s78, v0
	v_cndmask_b32_e32 v0, v0, v1, vcc
	v_mov_b32_e32 v1, 0
.LBB12_207:
	s_or_b64 exec, exec, s[6:7]
	s_load_dwordx2 s[4:5], s[4:5], 0x40
	v_pk_mov_b32 v[2:3], s[72:73], s[72:73] op_sel:[0,1]
	s_waitcnt lgkmcnt(0)
	v_mad_u64_u32 v[10:11], s[6:7], s33, v64, v[2:3]
	s_ashr_i32 s8, s33, 31
	v_mov_b32_e32 v2, v11
	v_cvt_f64_f32_e32 v[8:9], v19
	v_mad_u64_u32 v[2:3], s[6:7], s8, v64, v[2:3]
	v_div_scale_f64 v[12:13], s[6:7], s[4:5], s[4:5], v[8:9]
	v_mov_b32_e32 v11, v2
	v_rcp_f64_e32 v[14:15], v[12:13]
	v_lshlrev_b64 v[2:3], 2, v[10:11]
	v_mov_b32_e32 v5, s71
	v_add_co_u32_e32 v4, vcc, s70, v2
	v_add_u32_e32 v16, 0x80, v0
	v_addc_co_u32_e32 v5, vcc, v5, v3, vcc
	global_store_dword v[4:5], v16, off
	v_fma_f64 v[16:17], -v[12:13], v[14:15], 1.0
	v_fmac_f64_e32 v[14:15], v[14:15], v[16:17]
	v_fma_f64 v[16:17], -v[12:13], v[14:15], 1.0
	v_fmac_f64_e32 v[14:15], v[14:15], v[16:17]
	v_div_scale_f64 v[16:17], vcc, v[8:9], s[4:5], v[8:9]
	v_mul_f64 v[20:21], v[16:17], v[14:15]
	v_fma_f64 v[12:13], -v[12:13], v[20:21], v[16:17]
	s_nop 1
	v_div_fmas_f64 v[12:13], v[12:13], v[14:15], v[20:21]
	v_div_fixup_f64 v[8:9], v[12:13], s[4:5], v[8:9]
	v_cvt_f32_f64_e32 v8, v[8:9]
	v_mov_b32_e32 v9, s69
	v_add_co_u32_e32 v14, vcc, s68, v2
	v_addc_co_u32_e32 v15, vcc, v9, v3, vcc
	v_cmp_lt_u64_e64 s[4:5], s[78:79], 2
	s_and_b64 vcc, exec, s[4:5]
	global_store_dword v[14:15], v8, off
	s_cbranch_vccnz .LBB12_217
; %bb.208:
	s_cmp_eq_u64 s[78:79], 2
	s_cbranch_scc1 .LBB12_213
; %bb.209:
	v_add_co_u32_e32 v2, vcc, 1, v0
	v_addc_co_u32_e32 v3, vcc, 0, v1, vcc
	s_add_u32 s4, s78, -1
	v_add_co_u32_e32 v12, vcc, 4, v4
	s_addc_u32 s5, s79, -1
	v_addc_co_u32_e32 v13, vcc, 0, v5, vcc
	s_and_b32 s6, s4, -2
	s_mov_b32 s7, s5
	v_add_co_u32_e32 v14, vcc, 4, v14
	v_pk_mov_b32 v[4:5], v[2:3], v[2:3] op_sel:[0,1]
	v_mov_b32_e32 v9, v8
	v_addc_co_u32_e32 v15, vcc, 0, v15, vcc
	s_mov_b64 s[8:9], s[6:7]
	v_pk_mov_b32 v[2:3], v[0:1], v[0:1] op_sel:[0,1]
.LBB12_210:                             ; =>This Inner Loop Header: Depth=1
	v_add_u32_e32 v17, 0x81, v4
	v_add_co_u32_e32 v4, vcc, 2, v4
	v_addc_co_u32_e32 v5, vcc, 0, v5, vcc
	v_add_u32_e32 v16, 0x81, v2
	v_add_co_u32_e32 v2, vcc, 2, v2
	v_addc_co_u32_e32 v3, vcc, 0, v3, vcc
	global_store_dwordx2 v[14:15], v[8:9], off
	v_add_co_u32_e32 v14, vcc, 8, v14
	v_addc_co_u32_e32 v15, vcc, 0, v15, vcc
	s_add_u32 s8, s8, -2
	global_store_dwordx2 v[12:13], v[16:17], off
	s_addc_u32 s9, s9, -1
	v_add_co_u32_e32 v12, vcc, 8, v12
	s_cmp_lg_u64 s[8:9], 0
	v_addc_co_u32_e32 v13, vcc, 0, v13, vcc
	s_cbranch_scc1 .LBB12_210
; %bb.211:
	s_cmp_eq_u64 s[4:5], s[6:7]
	s_cbranch_scc1 .LBB12_214
; %bb.212:
	v_mov_b32_e32 v1, s7
	v_add_co_u32_e32 v10, vcc, s6, v10
	s_or_b32 s4, s4, 1
	v_add_u32_e32 v0, s6, v0
	v_addc_co_u32_e32 v11, vcc, v11, v1, vcc
	s_cbranch_execnz .LBB12_215
	s_branch .LBB12_217
.LBB12_213:
	s_mov_b32 s4, 1
	s_cbranch_execnz .LBB12_215
	s_branch .LBB12_217
.LBB12_214:
	s_mov_b32 s4, 1
                                        ; implicit-def: $vgpr10_vgpr11
                                        ; implicit-def: $vgpr0
	s_branch .LBB12_217
.LBB12_215:
	v_add_u32_e32 v9, 0x81, v0
	v_lshlrev_b64 v[0:1], 2, v[10:11]
	v_add_co_u32_e32 v2, vcc, 4, v0
	v_addc_co_u32_e32 v3, vcc, 0, v1, vcc
	v_mov_b32_e32 v1, s69
	v_add_co_u32_e32 v0, vcc, s68, v2
	v_addc_co_u32_e32 v1, vcc, v1, v3, vcc
	v_mov_b32_e32 v4, s71
	v_add_co_u32_e32 v2, vcc, s70, v2
	s_mov_b32 s5, 0
	v_addc_co_u32_e32 v3, vcc, v4, v3, vcc
	v_pk_mov_b32 v[4:5], s[78:79], s[78:79] op_sel:[0,1]
.LBB12_216:                             ; =>This Inner Loop Header: Depth=1
	global_store_dword v[2:3], v9, off
	global_store_dword v[0:1], v8, off
	v_add_co_u32_e32 v0, vcc, 4, v0
	v_addc_co_u32_e32 v1, vcc, 0, v1, vcc
	s_add_u32 s4, s4, 1
	v_add_co_u32_e32 v2, vcc, 4, v2
	v_addc_co_u32_e32 v3, vcc, 0, v3, vcc
	s_addc_u32 s5, s5, 0
	v_cmp_lt_u64_e32 vcc, s[4:5], v[4:5]
	v_add_u32_e32 v9, 1, v9
	s_cbranch_vccnz .LBB12_216
.LBB12_217:
	s_or_b64 exec, exec, s[2:3]
	v_cmp_gt_i64_e64 s[4:5], s[76:77], 0
	s_mov_b64 s[2:3], 0
	s_and_b64 s[0:1], s[0:1], s[4:5]
	s_waitcnt lgkmcnt(0)
	s_barrier
	s_and_b64 exec, exec, s[0:1]
	s_cbranch_execz .LBB12_224
; %bb.218:
	v_mad_u64_u32 v[0:1], s[0:1], s33, v64, 0
	s_ashr_i32 s4, s33, 31
	v_mov_b32_e32 v2, v1
	v_mad_u64_u32 v[2:3], s[0:1], s4, v64, v[2:3]
	v_mov_b32_e32 v1, v2
	v_lshlrev_b64 v[0:1], 2, v[0:1]
	v_mov_b32_e32 v2, s69
	v_add_co_u32_e32 v4, vcc, s68, v0
	v_addc_co_u32_e32 v5, vcc, v2, v1, vcc
	v_cmp_lt_u64_e64 s[0:1], s[76:77], 8
	s_and_b64 vcc, exec, s[0:1]
	s_cbranch_vccnz .LBB12_221
; %bb.219:
	s_and_b32 s3, s77, 0x7fffffff
	s_and_b32 s2, s76, -8
	s_mov_b64 s[0:1], 0
	s_mov_b64 s[4:5], s[2:3]
.LBB12_220:                             ; =>This Inner Loop Header: Depth=1
	v_mov_b32_e32 v1, s1
	v_add_co_u32_e32 v2, vcc, s0, v6
	v_addc_co_u32_e32 v3, vcc, v7, v1, vcc
	flat_load_dword v8, v[2:3]
	v_add_co_u32_e32 v0, vcc, s0, v4
	v_addc_co_u32_e32 v1, vcc, v5, v1, vcc
	s_add_u32 s0, s0, 32
	s_addc_u32 s1, s1, 0
	s_add_u32 s4, s4, -8
	s_addc_u32 s5, s5, -1
	s_cmp_lg_u64 s[4:5], 0
	s_waitcnt vmcnt(0) lgkmcnt(0)
	v_div_scale_f32 v9, s[6:7], v19, v19, v8
	v_rcp_f32_e32 v11, v9
	v_div_scale_f32 v10, vcc, v8, v19, v8
	v_fma_f32 v12, -v9, v11, 1.0
	v_fmac_f32_e32 v11, v12, v11
	v_mul_f32_e32 v12, v10, v11
	v_fma_f32 v13, -v9, v12, v10
	v_fmac_f32_e32 v12, v13, v11
	v_fma_f32 v9, -v9, v12, v10
	v_div_fmas_f32 v9, v9, v11, v12
	v_div_fixup_f32 v8, v9, v19, v8
	global_store_dword v[0:1], v8, off
	flat_load_dword v8, v[2:3] offset:4
	s_waitcnt vmcnt(0) lgkmcnt(0)
	v_div_scale_f32 v9, s[6:7], v19, v19, v8
	v_rcp_f32_e32 v11, v9
	v_div_scale_f32 v10, vcc, v8, v19, v8
	v_fma_f32 v12, -v9, v11, 1.0
	v_fmac_f32_e32 v11, v12, v11
	v_mul_f32_e32 v12, v10, v11
	v_fma_f32 v13, -v9, v12, v10
	v_fmac_f32_e32 v12, v13, v11
	v_fma_f32 v9, -v9, v12, v10
	v_div_fmas_f32 v9, v9, v11, v12
	v_div_fixup_f32 v8, v9, v19, v8
	global_store_dword v[0:1], v8, off offset:4
	flat_load_dword v8, v[2:3] offset:8
	s_waitcnt vmcnt(0) lgkmcnt(0)
	v_div_scale_f32 v9, s[6:7], v19, v19, v8
	v_rcp_f32_e32 v11, v9
	v_div_scale_f32 v10, vcc, v8, v19, v8
	v_fma_f32 v12, -v9, v11, 1.0
	v_fmac_f32_e32 v11, v12, v11
	v_mul_f32_e32 v12, v10, v11
	v_fma_f32 v13, -v9, v12, v10
	v_fmac_f32_e32 v12, v13, v11
	v_fma_f32 v9, -v9, v12, v10
	v_div_fmas_f32 v9, v9, v11, v12
	v_div_fixup_f32 v8, v9, v19, v8
	global_store_dword v[0:1], v8, off offset:8
	flat_load_dword v8, v[2:3] offset:12
	s_waitcnt vmcnt(0) lgkmcnt(0)
	v_div_scale_f32 v9, s[6:7], v19, v19, v8
	v_rcp_f32_e32 v11, v9
	v_div_scale_f32 v10, vcc, v8, v19, v8
	v_fma_f32 v12, -v9, v11, 1.0
	v_fmac_f32_e32 v11, v12, v11
	v_mul_f32_e32 v12, v10, v11
	v_fma_f32 v13, -v9, v12, v10
	v_fmac_f32_e32 v12, v13, v11
	v_fma_f32 v9, -v9, v12, v10
	v_div_fmas_f32 v9, v9, v11, v12
	v_div_fixup_f32 v8, v9, v19, v8
	global_store_dword v[0:1], v8, off offset:12
	flat_load_dword v8, v[2:3] offset:16
	s_waitcnt vmcnt(0) lgkmcnt(0)
	v_div_scale_f32 v9, s[6:7], v19, v19, v8
	v_rcp_f32_e32 v11, v9
	v_div_scale_f32 v10, vcc, v8, v19, v8
	v_fma_f32 v12, -v9, v11, 1.0
	v_fmac_f32_e32 v11, v12, v11
	v_mul_f32_e32 v12, v10, v11
	v_fma_f32 v13, -v9, v12, v10
	v_fmac_f32_e32 v12, v13, v11
	v_fma_f32 v9, -v9, v12, v10
	v_div_fmas_f32 v9, v9, v11, v12
	v_div_fixup_f32 v8, v9, v19, v8
	global_store_dword v[0:1], v8, off offset:16
	flat_load_dword v8, v[2:3] offset:20
	s_waitcnt vmcnt(0) lgkmcnt(0)
	v_div_scale_f32 v9, s[6:7], v19, v19, v8
	v_rcp_f32_e32 v11, v9
	v_div_scale_f32 v10, vcc, v8, v19, v8
	v_fma_f32 v12, -v9, v11, 1.0
	v_fmac_f32_e32 v11, v12, v11
	v_mul_f32_e32 v12, v10, v11
	v_fma_f32 v13, -v9, v12, v10
	v_fmac_f32_e32 v12, v13, v11
	v_fma_f32 v9, -v9, v12, v10
	v_div_fmas_f32 v9, v9, v11, v12
	v_div_fixup_f32 v8, v9, v19, v8
	global_store_dword v[0:1], v8, off offset:20
	flat_load_dword v8, v[2:3] offset:24
	s_waitcnt vmcnt(0) lgkmcnt(0)
	v_div_scale_f32 v9, s[6:7], v19, v19, v8
	v_rcp_f32_e32 v10, v9
	v_div_scale_f32 v11, vcc, v8, v19, v8
	v_fma_f32 v12, -v9, v10, 1.0
	v_fmac_f32_e32 v10, v12, v10
	v_mul_f32_e32 v12, v11, v10
	v_fma_f32 v13, -v9, v12, v11
	v_fmac_f32_e32 v12, v13, v10
	v_fma_f32 v9, -v9, v12, v11
	v_div_fmas_f32 v9, v9, v10, v12
	v_div_fixup_f32 v8, v9, v19, v8
	global_store_dword v[0:1], v8, off offset:24
	flat_load_dword v2, v[2:3] offset:28
	s_waitcnt vmcnt(0) lgkmcnt(0)
	v_div_scale_f32 v3, s[6:7], v19, v19, v2
	v_rcp_f32_e32 v8, v3
	v_div_scale_f32 v9, vcc, v2, v19, v2
	v_fma_f32 v10, -v3, v8, 1.0
	v_fmac_f32_e32 v8, v10, v8
	v_mul_f32_e32 v10, v9, v8
	v_fma_f32 v11, -v3, v10, v9
	v_fmac_f32_e32 v10, v11, v8
	v_fma_f32 v3, -v3, v10, v9
	v_div_fmas_f32 v3, v3, v8, v10
	v_div_fixup_f32 v2, v3, v19, v2
	global_store_dword v[0:1], v2, off offset:28
	s_cbranch_scc1 .LBB12_220
.LBB12_221:
	s_and_b32 s0, s76, 7
	s_mov_b32 s1, 0
	s_cmp_eq_u64 s[0:1], 0
	s_cbranch_scc1 .LBB12_224
; %bb.222:
	s_mov_b64 s[4:5], s[0:1]
.LBB12_223:                             ; =>This Inner Loop Header: Depth=1
	s_lshl_b64 s[6:7], s[2:3], 2
	v_mov_b32_e32 v2, s7
	v_add_co_u32_e32 v0, vcc, s6, v6
	v_addc_co_u32_e32 v1, vcc, v7, v2, vcc
	flat_load_dword v3, v[0:1]
	v_add_co_u32_e32 v0, vcc, s6, v4
	v_addc_co_u32_e32 v1, vcc, v5, v2, vcc
	s_add_i32 s0, s2, 1
	s_add_u32 s4, s4, -1
	s_addc_u32 s5, s5, -1
	s_mov_b64 s[2:3], s[0:1]
	s_cmp_lg_u64 s[4:5], 0
	s_waitcnt vmcnt(0) lgkmcnt(0)
	v_div_scale_f32 v2, s[6:7], v19, v19, v3
	v_rcp_f32_e32 v8, v2
	v_div_scale_f32 v9, vcc, v3, v19, v3
	v_fma_f32 v10, -v2, v8, 1.0
	v_fmac_f32_e32 v8, v10, v8
	v_mul_f32_e32 v10, v9, v8
	v_fma_f32 v11, -v2, v10, v9
	v_fmac_f32_e32 v10, v11, v8
	v_fma_f32 v2, -v2, v10, v9
	v_div_fmas_f32 v2, v2, v8, v10
	v_div_fixup_f32 v2, v2, v19, v3
	global_store_dword v[0:1], v2, off
	s_cbranch_scc1 .LBB12_223
.LBB12_224:
	s_endpgm
	.section	.rodata,"a",@progbits
	.p2align	6, 0x0
	.amdhsa_kernel _Z21moe_fused_gate_kernelIfLi32ELi128ELi4ELi1EEvPvS0_PfPilllldi
		.amdhsa_group_segment_fixed_size 0
		.amdhsa_private_segment_fixed_size 0
		.amdhsa_kernarg_size 76
		.amdhsa_user_sgpr_count 6
		.amdhsa_user_sgpr_private_segment_buffer 1
		.amdhsa_user_sgpr_dispatch_ptr 0
		.amdhsa_user_sgpr_queue_ptr 0
		.amdhsa_user_sgpr_kernarg_segment_ptr 1
		.amdhsa_user_sgpr_dispatch_id 0
		.amdhsa_user_sgpr_flat_scratch_init 0
		.amdhsa_user_sgpr_kernarg_preload_length 0
		.amdhsa_user_sgpr_kernarg_preload_offset 0
		.amdhsa_user_sgpr_private_segment_size 0
		.amdhsa_uses_dynamic_stack 0
		.amdhsa_system_sgpr_private_segment_wavefront_offset 0
		.amdhsa_system_sgpr_workgroup_id_x 1
		.amdhsa_system_sgpr_workgroup_id_y 0
		.amdhsa_system_sgpr_workgroup_id_z 0
		.amdhsa_system_sgpr_workgroup_info 0
		.amdhsa_system_vgpr_workitem_id 1
		.amdhsa_next_free_vgpr 82
		.amdhsa_next_free_sgpr 85
		.amdhsa_accum_offset 84
		.amdhsa_reserve_vcc 1
		.amdhsa_reserve_flat_scratch 0
		.amdhsa_float_round_mode_32 0
		.amdhsa_float_round_mode_16_64 0
		.amdhsa_float_denorm_mode_32 3
		.amdhsa_float_denorm_mode_16_64 3
		.amdhsa_dx10_clamp 1
		.amdhsa_ieee_mode 1
		.amdhsa_fp16_overflow 0
		.amdhsa_tg_split 0
		.amdhsa_exception_fp_ieee_invalid_op 0
		.amdhsa_exception_fp_denorm_src 0
		.amdhsa_exception_fp_ieee_div_zero 0
		.amdhsa_exception_fp_ieee_overflow 0
		.amdhsa_exception_fp_ieee_underflow 0
		.amdhsa_exception_fp_ieee_inexact 0
		.amdhsa_exception_int_div_zero 0
	.end_amdhsa_kernel
	.section	.text._Z21moe_fused_gate_kernelIfLi32ELi128ELi4ELi1EEvPvS0_PfPilllldi,"axG",@progbits,_Z21moe_fused_gate_kernelIfLi32ELi128ELi4ELi1EEvPvS0_PfPilllldi,comdat
.Lfunc_end12:
	.size	_Z21moe_fused_gate_kernelIfLi32ELi128ELi4ELi1EEvPvS0_PfPilllldi, .Lfunc_end12-_Z21moe_fused_gate_kernelIfLi32ELi128ELi4ELi1EEvPvS0_PfPilllldi
                                        ; -- End function
	.section	.AMDGPU.csdata,"",@progbits
; Kernel info:
; codeLenInByte = 11812
; NumSgprs: 89
; NumVgprs: 82
; NumAgprs: 0
; TotalNumVgprs: 82
; ScratchSize: 0
; MemoryBound: 1
; FloatMode: 240
; IeeeMode: 1
; LDSByteSize: 0 bytes/workgroup (compile time only)
; SGPRBlocks: 11
; VGPRBlocks: 10
; NumSGPRsForWavesPerEU: 89
; NumVGPRsForWavesPerEU: 82
; AccumOffset: 84
; Occupancy: 5
; WaveLimiterHint : 0
; COMPUTE_PGM_RSRC2:SCRATCH_EN: 0
; COMPUTE_PGM_RSRC2:USER_SGPR: 6
; COMPUTE_PGM_RSRC2:TRAP_HANDLER: 0
; COMPUTE_PGM_RSRC2:TGID_X_EN: 1
; COMPUTE_PGM_RSRC2:TGID_Y_EN: 0
; COMPUTE_PGM_RSRC2:TGID_Z_EN: 0
; COMPUTE_PGM_RSRC2:TIDIG_COMP_CNT: 1
; COMPUTE_PGM_RSRC3_GFX90A:ACCUM_OFFSET: 20
; COMPUTE_PGM_RSRC3_GFX90A:TG_SPLIT: 0
	.section	.text._Z21moe_fused_gate_kernelItLi16ELi128ELi8ELi1EEvPvS0_PfPilllldi,"axG",@progbits,_Z21moe_fused_gate_kernelItLi16ELi128ELi8ELi1EEvPvS0_PfPilllldi,comdat
	.protected	_Z21moe_fused_gate_kernelItLi16ELi128ELi8ELi1EEvPvS0_PfPilllldi ; -- Begin function _Z21moe_fused_gate_kernelItLi16ELi128ELi8ELi1EEvPvS0_PfPilllldi
	.globl	_Z21moe_fused_gate_kernelItLi16ELi128ELi8ELi1EEvPvS0_PfPilllldi
	.p2align	8
	.type	_Z21moe_fused_gate_kernelItLi16ELi128ELi8ELi1EEvPvS0_PfPilllldi,@function
_Z21moe_fused_gate_kernelItLi16ELi128ELi8ELi1EEvPvS0_PfPilllldi: ; @_Z21moe_fused_gate_kernelItLi16ELi128ELi8ELi1EEvPvS0_PfPilllldi
; %bb.0:
	s_load_dwordx16 s[36:51], s[4:5], 0x0
	v_and_b32_e32 v1, 0x3ff, v0
	v_bfe_u32 v0, v0, 10, 10
	v_add_u32_e32 v0, s6, v0
	v_lshrrev_b32_e32 v34, 3, v1
	v_mov_b32_e32 v37, 0
	v_lshl_add_u32 v16, v0, 3, v34
	v_mov_b32_e32 v17, v37
	s_waitcnt lgkmcnt(0)
	v_cmp_gt_i64_e32 vcc, s[44:45], v[16:17]
	s_and_saveexec_b64 s[0:1], vcc
	s_cbranch_execz .LBB13_128
; %bb.1:
	v_lshlrev_b64 v[2:3], 8, v[16:17]
	v_mov_b32_e32 v0, s37
	v_add_co_u32_e32 v2, vcc, s36, v2
	v_and_b32_e32 v36, 7, v1
	v_addc_co_u32_e32 v0, vcc, v0, v3, vcc
	v_lshlrev_b32_e32 v20, 5, v36
	v_add_co_u32_e32 v18, vcc, v2, v20
	v_addc_co_u32_e32 v19, vcc, 0, v0, vcc
	global_load_dwordx4 v[8:11], v[18:19], off offset:16
	global_load_dwordx4 v[12:15], v[18:19], off
	global_load_dwordx4 v[0:3], v20, s[38:39] offset:16
	global_load_dwordx4 v[4:7], v20, s[38:39]
	s_waitcnt vmcnt(2)
	v_lshlrev_b32_e32 v18, 16, v12
	v_cmp_o_f32_e32 vcc, v18, v18
	s_and_saveexec_b64 s[0:1], vcc
	s_cbranch_execz .LBB13_3
; %bb.2:
	v_mul_f32_e32 v19, 0xbfb8aa3b, v18
	s_mov_b32 s2, 0xbfb8aa3b
	v_rndne_f32_e32 v20, v19
	v_sub_f32_e32 v21, v19, v20
	v_fma_f32 v19, v18, s2, -v19
	v_fmac_f32_e32 v19, 0xb2a5705f, v18
	v_add_f32_e32 v19, v21, v19
	v_exp_f32_e32 v19, v19
	v_cvt_i32_f32_e32 v20, v20
	s_mov_b32 s2, 0x42ce8ed0
	v_cmp_nlt_f32_e32 vcc, s2, v18
	s_mov_b32 s2, 0xc2b17218
	v_ldexp_f32 v19, v19, v20
	v_cndmask_b32_e32 v19, 0, v19, vcc
	v_mov_b32_e32 v20, 0x7f800000
	v_cmp_ngt_f32_e32 vcc, s2, v18
	v_cndmask_b32_e32 v18, v20, v19, vcc
	v_add_f32_e32 v18, 1.0, v18
	v_div_scale_f32 v19, s[2:3], v18, v18, 1.0
	v_rcp_f32_e32 v20, v19
	v_fma_f32 v21, -v19, v20, 1.0
	v_fmac_f32_e32 v20, v21, v20
	v_div_scale_f32 v21, vcc, 1.0, v18, 1.0
	v_mul_f32_e32 v22, v21, v20
	v_fma_f32 v23, -v19, v22, v21
	v_fmac_f32_e32 v22, v23, v20
	v_fma_f32 v19, -v19, v22, v21
	v_div_fmas_f32 v19, v19, v20, v22
	v_div_fixup_f32 v37, v19, v18, 1.0
.LBB13_3:
	s_or_b64 exec, exec, s[0:1]
	v_and_b32_e32 v12, 0xffff0000, v12
	v_cmp_o_f32_e32 vcc, v12, v12
	v_mov_b32_e32 v19, 0
	v_mov_b32_e32 v18, 0
	s_and_saveexec_b64 s[0:1], vcc
	s_cbranch_execz .LBB13_5
; %bb.4:
	v_mul_f32_e32 v18, 0xbfb8aa3b, v12
	s_mov_b32 s2, 0xbfb8aa3b
	v_rndne_f32_e32 v20, v18
	v_sub_f32_e32 v21, v18, v20
	v_fma_f32 v18, v12, s2, -v18
	v_fmac_f32_e32 v18, 0xb2a5705f, v12
	v_add_f32_e32 v18, v21, v18
	v_exp_f32_e32 v18, v18
	v_cvt_i32_f32_e32 v20, v20
	s_mov_b32 s2, 0x42ce8ed0
	v_cmp_nlt_f32_e32 vcc, s2, v12
	s_mov_b32 s2, 0xc2b17218
	v_ldexp_f32 v18, v18, v20
	v_cndmask_b32_e32 v18, 0, v18, vcc
	v_mov_b32_e32 v20, 0x7f800000
	v_cmp_ngt_f32_e32 vcc, s2, v12
	v_cndmask_b32_e32 v12, v20, v18, vcc
	v_add_f32_e32 v12, 1.0, v12
	v_div_scale_f32 v18, s[2:3], v12, v12, 1.0
	v_rcp_f32_e32 v20, v18
	v_fma_f32 v21, -v18, v20, 1.0
	v_fmac_f32_e32 v20, v21, v20
	v_div_scale_f32 v21, vcc, 1.0, v12, 1.0
	v_mul_f32_e32 v22, v21, v20
	v_fma_f32 v23, -v18, v22, v21
	v_fmac_f32_e32 v22, v23, v20
	v_fma_f32 v18, -v18, v22, v21
	v_div_fmas_f32 v18, v18, v20, v22
	v_div_fixup_f32 v18, v18, v12, 1.0
.LBB13_5:
	s_or_b64 exec, exec, s[0:1]
	v_lshlrev_b32_e32 v12, 16, v13
	v_cmp_o_f32_e32 vcc, v12, v12
	s_and_saveexec_b64 s[0:1], vcc
	s_cbranch_execz .LBB13_7
; %bb.6:
	v_mul_f32_e32 v19, 0xbfb8aa3b, v12
	s_mov_b32 s2, 0xbfb8aa3b
	v_rndne_f32_e32 v20, v19
	v_sub_f32_e32 v21, v19, v20
	v_fma_f32 v19, v12, s2, -v19
	v_fmac_f32_e32 v19, 0xb2a5705f, v12
	v_add_f32_e32 v19, v21, v19
	v_exp_f32_e32 v19, v19
	v_cvt_i32_f32_e32 v20, v20
	s_mov_b32 s2, 0x42ce8ed0
	v_cmp_nlt_f32_e32 vcc, s2, v12
	s_mov_b32 s2, 0xc2b17218
	v_ldexp_f32 v19, v19, v20
	v_cndmask_b32_e32 v19, 0, v19, vcc
	v_mov_b32_e32 v20, 0x7f800000
	v_cmp_ngt_f32_e32 vcc, s2, v12
	v_cndmask_b32_e32 v12, v20, v19, vcc
	v_add_f32_e32 v12, 1.0, v12
	v_div_scale_f32 v19, s[2:3], v12, v12, 1.0
	v_rcp_f32_e32 v20, v19
	v_fma_f32 v21, -v19, v20, 1.0
	v_fmac_f32_e32 v20, v21, v20
	v_div_scale_f32 v21, vcc, 1.0, v12, 1.0
	v_mul_f32_e32 v22, v21, v20
	v_fma_f32 v23, -v19, v22, v21
	v_fmac_f32_e32 v22, v23, v20
	v_fma_f32 v19, -v19, v22, v21
	v_div_fmas_f32 v19, v19, v20, v22
	v_div_fixup_f32 v19, v19, v12, 1.0
.LBB13_7:
	s_or_b64 exec, exec, s[0:1]
	v_and_b32_e32 v20, 0xffff0000, v13
	v_cmp_o_f32_e32 vcc, v20, v20
	v_mov_b32_e32 v13, 0
	v_mov_b32_e32 v12, 0
	s_and_saveexec_b64 s[0:1], vcc
	s_cbranch_execz .LBB13_9
; %bb.8:
	v_mul_f32_e32 v12, 0xbfb8aa3b, v20
	s_mov_b32 s2, 0xbfb8aa3b
	v_rndne_f32_e32 v21, v12
	v_sub_f32_e32 v22, v12, v21
	v_fma_f32 v12, v20, s2, -v12
	v_fmac_f32_e32 v12, 0xb2a5705f, v20
	v_add_f32_e32 v12, v22, v12
	v_exp_f32_e32 v12, v12
	v_cvt_i32_f32_e32 v21, v21
	s_mov_b32 s2, 0x42ce8ed0
	v_cmp_nlt_f32_e32 vcc, s2, v20
	s_mov_b32 s2, 0xc2b17218
	v_ldexp_f32 v12, v12, v21
	v_cndmask_b32_e32 v12, 0, v12, vcc
	v_mov_b32_e32 v21, 0x7f800000
	v_cmp_ngt_f32_e32 vcc, s2, v20
	v_cndmask_b32_e32 v12, v21, v12, vcc
	v_add_f32_e32 v12, 1.0, v12
	v_div_scale_f32 v20, s[2:3], v12, v12, 1.0
	v_rcp_f32_e32 v21, v20
	v_fma_f32 v22, -v20, v21, 1.0
	v_fmac_f32_e32 v21, v22, v21
	v_div_scale_f32 v22, vcc, 1.0, v12, 1.0
	v_mul_f32_e32 v23, v22, v21
	v_fma_f32 v24, -v20, v23, v22
	v_fmac_f32_e32 v23, v24, v21
	v_fma_f32 v20, -v20, v23, v22
	v_div_fmas_f32 v20, v20, v21, v23
	v_div_fixup_f32 v12, v20, v12, 1.0
.LBB13_9:
	s_or_b64 exec, exec, s[0:1]
	v_lshlrev_b32_e32 v20, 16, v14
	v_cmp_o_f32_e32 vcc, v20, v20
	s_and_saveexec_b64 s[0:1], vcc
	s_cbranch_execz .LBB13_11
; %bb.10:
	v_mul_f32_e32 v13, 0xbfb8aa3b, v20
	s_mov_b32 s2, 0xbfb8aa3b
	v_rndne_f32_e32 v21, v13
	v_sub_f32_e32 v22, v13, v21
	v_fma_f32 v13, v20, s2, -v13
	v_fmac_f32_e32 v13, 0xb2a5705f, v20
	v_add_f32_e32 v13, v22, v13
	v_exp_f32_e32 v13, v13
	v_cvt_i32_f32_e32 v21, v21
	s_mov_b32 s2, 0x42ce8ed0
	v_cmp_nlt_f32_e32 vcc, s2, v20
	s_mov_b32 s2, 0xc2b17218
	v_ldexp_f32 v13, v13, v21
	v_cndmask_b32_e32 v13, 0, v13, vcc
	v_mov_b32_e32 v21, 0x7f800000
	v_cmp_ngt_f32_e32 vcc, s2, v20
	v_cndmask_b32_e32 v13, v21, v13, vcc
	v_add_f32_e32 v13, 1.0, v13
	v_div_scale_f32 v20, s[2:3], v13, v13, 1.0
	v_rcp_f32_e32 v21, v20
	v_fma_f32 v22, -v20, v21, 1.0
	v_fmac_f32_e32 v21, v22, v21
	v_div_scale_f32 v22, vcc, 1.0, v13, 1.0
	v_mul_f32_e32 v23, v22, v21
	v_fma_f32 v24, -v20, v23, v22
	v_fmac_f32_e32 v23, v24, v21
	v_fma_f32 v20, -v20, v23, v22
	v_div_fmas_f32 v20, v20, v21, v23
	v_div_fixup_f32 v13, v20, v13, 1.0
.LBB13_11:
	s_or_b64 exec, exec, s[0:1]
	v_and_b32_e32 v14, 0xffff0000, v14
	v_cmp_o_f32_e32 vcc, v14, v14
	v_mov_b32_e32 v21, 0
	v_mov_b32_e32 v20, 0
	s_and_saveexec_b64 s[0:1], vcc
	s_cbranch_execz .LBB13_13
; %bb.12:
	v_mul_f32_e32 v20, 0xbfb8aa3b, v14
	s_mov_b32 s2, 0xbfb8aa3b
	v_rndne_f32_e32 v22, v20
	v_sub_f32_e32 v23, v20, v22
	v_fma_f32 v20, v14, s2, -v20
	v_fmac_f32_e32 v20, 0xb2a5705f, v14
	v_add_f32_e32 v20, v23, v20
	v_exp_f32_e32 v20, v20
	v_cvt_i32_f32_e32 v22, v22
	s_mov_b32 s2, 0x42ce8ed0
	v_cmp_nlt_f32_e32 vcc, s2, v14
	s_mov_b32 s2, 0xc2b17218
	v_ldexp_f32 v20, v20, v22
	v_cndmask_b32_e32 v20, 0, v20, vcc
	v_mov_b32_e32 v22, 0x7f800000
	v_cmp_ngt_f32_e32 vcc, s2, v14
	v_cndmask_b32_e32 v14, v22, v20, vcc
	v_add_f32_e32 v14, 1.0, v14
	v_div_scale_f32 v20, s[2:3], v14, v14, 1.0
	v_rcp_f32_e32 v22, v20
	v_fma_f32 v23, -v20, v22, 1.0
	v_fmac_f32_e32 v22, v23, v22
	v_div_scale_f32 v23, vcc, 1.0, v14, 1.0
	v_mul_f32_e32 v24, v23, v22
	v_fma_f32 v25, -v20, v24, v23
	v_fmac_f32_e32 v24, v25, v22
	v_fma_f32 v20, -v20, v24, v23
	v_div_fmas_f32 v20, v20, v22, v24
	v_div_fixup_f32 v20, v20, v14, 1.0
.LBB13_13:
	s_or_b64 exec, exec, s[0:1]
	v_lshlrev_b32_e32 v14, 16, v15
	v_cmp_o_f32_e32 vcc, v14, v14
	s_and_saveexec_b64 s[0:1], vcc
	s_cbranch_execz .LBB13_15
; %bb.14:
	v_mul_f32_e32 v21, 0xbfb8aa3b, v14
	s_mov_b32 s2, 0xbfb8aa3b
	v_rndne_f32_e32 v22, v21
	v_sub_f32_e32 v23, v21, v22
	v_fma_f32 v21, v14, s2, -v21
	v_fmac_f32_e32 v21, 0xb2a5705f, v14
	v_add_f32_e32 v21, v23, v21
	v_exp_f32_e32 v21, v21
	v_cvt_i32_f32_e32 v22, v22
	s_mov_b32 s2, 0x42ce8ed0
	v_cmp_nlt_f32_e32 vcc, s2, v14
	s_mov_b32 s2, 0xc2b17218
	v_ldexp_f32 v21, v21, v22
	v_cndmask_b32_e32 v21, 0, v21, vcc
	v_mov_b32_e32 v22, 0x7f800000
	v_cmp_ngt_f32_e32 vcc, s2, v14
	v_cndmask_b32_e32 v14, v22, v21, vcc
	v_add_f32_e32 v14, 1.0, v14
	v_div_scale_f32 v21, s[2:3], v14, v14, 1.0
	v_rcp_f32_e32 v22, v21
	v_fma_f32 v23, -v21, v22, 1.0
	v_fmac_f32_e32 v22, v23, v22
	v_div_scale_f32 v23, vcc, 1.0, v14, 1.0
	v_mul_f32_e32 v24, v23, v22
	v_fma_f32 v25, -v21, v24, v23
	v_fmac_f32_e32 v24, v25, v22
	v_fma_f32 v21, -v21, v24, v23
	v_div_fmas_f32 v21, v21, v22, v24
	v_div_fixup_f32 v21, v21, v14, 1.0
.LBB13_15:
	s_or_b64 exec, exec, s[0:1]
	v_and_b32_e32 v22, 0xffff0000, v15
	v_cmp_o_f32_e32 vcc, v22, v22
	v_mov_b32_e32 v15, 0
	v_mov_b32_e32 v14, 0
	s_and_saveexec_b64 s[0:1], vcc
	s_cbranch_execz .LBB13_17
; %bb.16:
	v_mul_f32_e32 v14, 0xbfb8aa3b, v22
	s_mov_b32 s2, 0xbfb8aa3b
	v_rndne_f32_e32 v23, v14
	v_sub_f32_e32 v24, v14, v23
	v_fma_f32 v14, v22, s2, -v14
	v_fmac_f32_e32 v14, 0xb2a5705f, v22
	v_add_f32_e32 v14, v24, v14
	v_exp_f32_e32 v14, v14
	v_cvt_i32_f32_e32 v23, v23
	s_mov_b32 s2, 0x42ce8ed0
	v_cmp_nlt_f32_e32 vcc, s2, v22
	s_mov_b32 s2, 0xc2b17218
	v_ldexp_f32 v14, v14, v23
	v_cndmask_b32_e32 v14, 0, v14, vcc
	v_mov_b32_e32 v23, 0x7f800000
	v_cmp_ngt_f32_e32 vcc, s2, v22
	v_cndmask_b32_e32 v14, v23, v14, vcc
	v_add_f32_e32 v14, 1.0, v14
	v_div_scale_f32 v22, s[2:3], v14, v14, 1.0
	v_rcp_f32_e32 v23, v22
	v_fma_f32 v24, -v22, v23, 1.0
	v_fmac_f32_e32 v23, v24, v23
	v_div_scale_f32 v24, vcc, 1.0, v14, 1.0
	v_mul_f32_e32 v25, v24, v23
	v_fma_f32 v26, -v22, v25, v24
	v_fmac_f32_e32 v25, v26, v23
	v_fma_f32 v22, -v22, v25, v24
	v_div_fmas_f32 v22, v22, v23, v25
	v_div_fixup_f32 v14, v22, v14, 1.0
.LBB13_17:
	s_or_b64 exec, exec, s[0:1]
	v_lshlrev_b32_e32 v22, 16, v8
	v_cmp_o_f32_e32 vcc, v22, v22
	s_and_saveexec_b64 s[0:1], vcc
	s_cbranch_execz .LBB13_19
; %bb.18:
	v_mul_f32_e32 v15, 0xbfb8aa3b, v22
	s_mov_b32 s2, 0xbfb8aa3b
	v_rndne_f32_e32 v23, v15
	v_sub_f32_e32 v24, v15, v23
	v_fma_f32 v15, v22, s2, -v15
	v_fmac_f32_e32 v15, 0xb2a5705f, v22
	v_add_f32_e32 v15, v24, v15
	v_exp_f32_e32 v15, v15
	v_cvt_i32_f32_e32 v23, v23
	s_mov_b32 s2, 0x42ce8ed0
	v_cmp_nlt_f32_e32 vcc, s2, v22
	s_mov_b32 s2, 0xc2b17218
	v_ldexp_f32 v15, v15, v23
	v_cndmask_b32_e32 v15, 0, v15, vcc
	v_mov_b32_e32 v23, 0x7f800000
	v_cmp_ngt_f32_e32 vcc, s2, v22
	v_cndmask_b32_e32 v15, v23, v15, vcc
	v_add_f32_e32 v15, 1.0, v15
	v_div_scale_f32 v22, s[2:3], v15, v15, 1.0
	v_rcp_f32_e32 v23, v22
	v_fma_f32 v24, -v22, v23, 1.0
	v_fmac_f32_e32 v23, v24, v23
	v_div_scale_f32 v24, vcc, 1.0, v15, 1.0
	v_mul_f32_e32 v25, v24, v23
	v_fma_f32 v26, -v22, v25, v24
	v_fmac_f32_e32 v25, v26, v23
	v_fma_f32 v22, -v22, v25, v24
	v_div_fmas_f32 v22, v22, v23, v25
	v_div_fixup_f32 v15, v22, v15, 1.0
.LBB13_19:
	s_or_b64 exec, exec, s[0:1]
	v_and_b32_e32 v8, 0xffff0000, v8
	v_cmp_o_f32_e32 vcc, v8, v8
	v_mov_b32_e32 v23, 0
	v_mov_b32_e32 v22, 0
	s_and_saveexec_b64 s[0:1], vcc
	s_cbranch_execz .LBB13_21
; %bb.20:
	v_mul_f32_e32 v22, 0xbfb8aa3b, v8
	s_mov_b32 s2, 0xbfb8aa3b
	v_rndne_f32_e32 v24, v22
	v_sub_f32_e32 v25, v22, v24
	v_fma_f32 v22, v8, s2, -v22
	v_fmac_f32_e32 v22, 0xb2a5705f, v8
	v_add_f32_e32 v22, v25, v22
	v_exp_f32_e32 v22, v22
	v_cvt_i32_f32_e32 v24, v24
	s_mov_b32 s2, 0x42ce8ed0
	v_cmp_nlt_f32_e32 vcc, s2, v8
	s_mov_b32 s2, 0xc2b17218
	v_ldexp_f32 v22, v22, v24
	v_cndmask_b32_e32 v22, 0, v22, vcc
	v_mov_b32_e32 v24, 0x7f800000
	v_cmp_ngt_f32_e32 vcc, s2, v8
	v_cndmask_b32_e32 v8, v24, v22, vcc
	v_add_f32_e32 v8, 1.0, v8
	v_div_scale_f32 v22, s[2:3], v8, v8, 1.0
	v_rcp_f32_e32 v24, v22
	v_fma_f32 v25, -v22, v24, 1.0
	v_fmac_f32_e32 v24, v25, v24
	v_div_scale_f32 v25, vcc, 1.0, v8, 1.0
	v_mul_f32_e32 v26, v25, v24
	v_fma_f32 v27, -v22, v26, v25
	v_fmac_f32_e32 v26, v27, v24
	v_fma_f32 v22, -v22, v26, v25
	v_div_fmas_f32 v22, v22, v24, v26
	v_div_fixup_f32 v22, v22, v8, 1.0
.LBB13_21:
	s_or_b64 exec, exec, s[0:1]
	v_lshlrev_b32_e32 v8, 16, v9
	v_cmp_o_f32_e32 vcc, v8, v8
	s_and_saveexec_b64 s[0:1], vcc
	s_cbranch_execz .LBB13_23
; %bb.22:
	v_mul_f32_e32 v23, 0xbfb8aa3b, v8
	s_mov_b32 s2, 0xbfb8aa3b
	v_rndne_f32_e32 v24, v23
	v_sub_f32_e32 v25, v23, v24
	v_fma_f32 v23, v8, s2, -v23
	v_fmac_f32_e32 v23, 0xb2a5705f, v8
	v_add_f32_e32 v23, v25, v23
	v_exp_f32_e32 v23, v23
	v_cvt_i32_f32_e32 v24, v24
	s_mov_b32 s2, 0x42ce8ed0
	v_cmp_nlt_f32_e32 vcc, s2, v8
	s_mov_b32 s2, 0xc2b17218
	v_ldexp_f32 v23, v23, v24
	v_cndmask_b32_e32 v23, 0, v23, vcc
	v_mov_b32_e32 v24, 0x7f800000
	v_cmp_ngt_f32_e32 vcc, s2, v8
	v_cndmask_b32_e32 v8, v24, v23, vcc
	v_add_f32_e32 v8, 1.0, v8
	v_div_scale_f32 v23, s[2:3], v8, v8, 1.0
	v_rcp_f32_e32 v24, v23
	v_fma_f32 v25, -v23, v24, 1.0
	v_fmac_f32_e32 v24, v25, v24
	v_div_scale_f32 v25, vcc, 1.0, v8, 1.0
	v_mul_f32_e32 v26, v25, v24
	v_fma_f32 v27, -v23, v26, v25
	v_fmac_f32_e32 v26, v27, v24
	v_fma_f32 v23, -v23, v26, v25
	v_div_fmas_f32 v23, v23, v24, v26
	v_div_fixup_f32 v23, v23, v8, 1.0
.LBB13_23:
	s_or_b64 exec, exec, s[0:1]
	v_and_b32_e32 v24, 0xffff0000, v9
	v_cmp_o_f32_e32 vcc, v24, v24
	v_mov_b32_e32 v9, 0
	v_mov_b32_e32 v8, 0
	s_and_saveexec_b64 s[0:1], vcc
	s_cbranch_execz .LBB13_25
; %bb.24:
	v_mul_f32_e32 v8, 0xbfb8aa3b, v24
	s_mov_b32 s2, 0xbfb8aa3b
	v_rndne_f32_e32 v25, v8
	v_sub_f32_e32 v26, v8, v25
	v_fma_f32 v8, v24, s2, -v8
	v_fmac_f32_e32 v8, 0xb2a5705f, v24
	v_add_f32_e32 v8, v26, v8
	v_exp_f32_e32 v8, v8
	v_cvt_i32_f32_e32 v25, v25
	s_mov_b32 s2, 0x42ce8ed0
	v_cmp_nlt_f32_e32 vcc, s2, v24
	s_mov_b32 s2, 0xc2b17218
	v_ldexp_f32 v8, v8, v25
	v_cndmask_b32_e32 v8, 0, v8, vcc
	v_mov_b32_e32 v25, 0x7f800000
	v_cmp_ngt_f32_e32 vcc, s2, v24
	v_cndmask_b32_e32 v8, v25, v8, vcc
	v_add_f32_e32 v8, 1.0, v8
	v_div_scale_f32 v24, s[2:3], v8, v8, 1.0
	v_rcp_f32_e32 v25, v24
	v_fma_f32 v26, -v24, v25, 1.0
	v_fmac_f32_e32 v25, v26, v25
	v_div_scale_f32 v26, vcc, 1.0, v8, 1.0
	v_mul_f32_e32 v27, v26, v25
	v_fma_f32 v28, -v24, v27, v26
	v_fmac_f32_e32 v27, v28, v25
	v_fma_f32 v24, -v24, v27, v26
	v_div_fmas_f32 v24, v24, v25, v27
	v_div_fixup_f32 v8, v24, v8, 1.0
.LBB13_25:
	s_or_b64 exec, exec, s[0:1]
	v_lshlrev_b32_e32 v24, 16, v10
	v_cmp_o_f32_e32 vcc, v24, v24
	s_and_saveexec_b64 s[0:1], vcc
	s_cbranch_execz .LBB13_27
; %bb.26:
	v_mul_f32_e32 v9, 0xbfb8aa3b, v24
	s_mov_b32 s2, 0xbfb8aa3b
	v_rndne_f32_e32 v25, v9
	v_sub_f32_e32 v26, v9, v25
	v_fma_f32 v9, v24, s2, -v9
	v_fmac_f32_e32 v9, 0xb2a5705f, v24
	v_add_f32_e32 v9, v26, v9
	v_exp_f32_e32 v9, v9
	v_cvt_i32_f32_e32 v25, v25
	s_mov_b32 s2, 0x42ce8ed0
	v_cmp_nlt_f32_e32 vcc, s2, v24
	s_mov_b32 s2, 0xc2b17218
	v_ldexp_f32 v9, v9, v25
	v_cndmask_b32_e32 v9, 0, v9, vcc
	v_mov_b32_e32 v25, 0x7f800000
	v_cmp_ngt_f32_e32 vcc, s2, v24
	v_cndmask_b32_e32 v9, v25, v9, vcc
	v_add_f32_e32 v9, 1.0, v9
	v_div_scale_f32 v24, s[2:3], v9, v9, 1.0
	v_rcp_f32_e32 v25, v24
	v_fma_f32 v26, -v24, v25, 1.0
	v_fmac_f32_e32 v25, v26, v25
	v_div_scale_f32 v26, vcc, 1.0, v9, 1.0
	v_mul_f32_e32 v27, v26, v25
	v_fma_f32 v28, -v24, v27, v26
	v_fmac_f32_e32 v27, v28, v25
	v_fma_f32 v24, -v24, v27, v26
	v_div_fmas_f32 v24, v24, v25, v27
	v_div_fixup_f32 v9, v24, v9, 1.0
.LBB13_27:
	s_or_b64 exec, exec, s[0:1]
	v_and_b32_e32 v10, 0xffff0000, v10
	v_cmp_o_f32_e32 vcc, v10, v10
	v_mov_b32_e32 v25, 0
	v_mov_b32_e32 v24, 0
	s_and_saveexec_b64 s[0:1], vcc
	s_cbranch_execz .LBB13_29
; %bb.28:
	v_mul_f32_e32 v24, 0xbfb8aa3b, v10
	s_mov_b32 s2, 0xbfb8aa3b
	v_rndne_f32_e32 v26, v24
	v_sub_f32_e32 v27, v24, v26
	v_fma_f32 v24, v10, s2, -v24
	v_fmac_f32_e32 v24, 0xb2a5705f, v10
	v_add_f32_e32 v24, v27, v24
	v_exp_f32_e32 v24, v24
	v_cvt_i32_f32_e32 v26, v26
	s_mov_b32 s2, 0x42ce8ed0
	v_cmp_nlt_f32_e32 vcc, s2, v10
	s_mov_b32 s2, 0xc2b17218
	v_ldexp_f32 v24, v24, v26
	v_cndmask_b32_e32 v24, 0, v24, vcc
	v_mov_b32_e32 v26, 0x7f800000
	v_cmp_ngt_f32_e32 vcc, s2, v10
	v_cndmask_b32_e32 v10, v26, v24, vcc
	v_add_f32_e32 v10, 1.0, v10
	v_div_scale_f32 v24, s[2:3], v10, v10, 1.0
	v_rcp_f32_e32 v26, v24
	v_fma_f32 v27, -v24, v26, 1.0
	v_fmac_f32_e32 v26, v27, v26
	v_div_scale_f32 v27, vcc, 1.0, v10, 1.0
	v_mul_f32_e32 v28, v27, v26
	v_fma_f32 v29, -v24, v28, v27
	v_fmac_f32_e32 v28, v29, v26
	v_fma_f32 v24, -v24, v28, v27
	v_div_fmas_f32 v24, v24, v26, v28
	v_div_fixup_f32 v24, v24, v10, 1.0
.LBB13_29:
	s_or_b64 exec, exec, s[0:1]
	v_lshlrev_b32_e32 v10, 16, v11
	v_cmp_o_f32_e32 vcc, v10, v10
	s_and_saveexec_b64 s[0:1], vcc
	s_cbranch_execz .LBB13_31
; %bb.30:
	v_mul_f32_e32 v25, 0xbfb8aa3b, v10
	s_mov_b32 s2, 0xbfb8aa3b
	v_rndne_f32_e32 v26, v25
	v_sub_f32_e32 v27, v25, v26
	v_fma_f32 v25, v10, s2, -v25
	v_fmac_f32_e32 v25, 0xb2a5705f, v10
	v_add_f32_e32 v25, v27, v25
	v_exp_f32_e32 v25, v25
	v_cvt_i32_f32_e32 v26, v26
	s_mov_b32 s2, 0x42ce8ed0
	v_cmp_nlt_f32_e32 vcc, s2, v10
	s_mov_b32 s2, 0xc2b17218
	v_ldexp_f32 v25, v25, v26
	v_cndmask_b32_e32 v25, 0, v25, vcc
	v_mov_b32_e32 v26, 0x7f800000
	v_cmp_ngt_f32_e32 vcc, s2, v10
	v_cndmask_b32_e32 v10, v26, v25, vcc
	v_add_f32_e32 v10, 1.0, v10
	v_div_scale_f32 v25, s[2:3], v10, v10, 1.0
	v_rcp_f32_e32 v26, v25
	v_fma_f32 v27, -v25, v26, 1.0
	v_fmac_f32_e32 v26, v27, v26
	v_div_scale_f32 v27, vcc, 1.0, v10, 1.0
	v_mul_f32_e32 v28, v27, v26
	v_fma_f32 v29, -v25, v28, v27
	v_fmac_f32_e32 v28, v29, v26
	v_fma_f32 v25, -v25, v28, v27
	v_div_fmas_f32 v25, v25, v26, v28
	v_div_fixup_f32 v25, v25, v10, 1.0
.LBB13_31:
	s_or_b64 exec, exec, s[0:1]
	v_and_b32_e32 v10, 0xffff0000, v11
	v_cmp_o_f32_e32 vcc, v10, v10
	v_mov_b32_e32 v38, 0
	s_and_saveexec_b64 s[0:1], vcc
	s_cbranch_execz .LBB13_33
; %bb.32:
	v_mul_f32_e32 v11, 0xbfb8aa3b, v10
	s_mov_b32 s2, 0xbfb8aa3b
	v_rndne_f32_e32 v26, v11
	v_sub_f32_e32 v27, v11, v26
	v_fma_f32 v11, v10, s2, -v11
	v_fmac_f32_e32 v11, 0xb2a5705f, v10
	v_add_f32_e32 v11, v27, v11
	v_exp_f32_e32 v11, v11
	v_cvt_i32_f32_e32 v26, v26
	s_mov_b32 s2, 0x42ce8ed0
	v_cmp_nlt_f32_e32 vcc, s2, v10
	s_mov_b32 s2, 0xc2b17218
	v_ldexp_f32 v11, v11, v26
	v_cndmask_b32_e32 v11, 0, v11, vcc
	v_mov_b32_e32 v26, 0x7f800000
	v_cmp_ngt_f32_e32 vcc, s2, v10
	v_cndmask_b32_e32 v10, v26, v11, vcc
	v_add_f32_e32 v10, 1.0, v10
	v_div_scale_f32 v11, s[2:3], v10, v10, 1.0
	v_rcp_f32_e32 v26, v11
	v_fma_f32 v27, -v11, v26, 1.0
	v_fmac_f32_e32 v26, v27, v26
	v_div_scale_f32 v27, vcc, 1.0, v10, 1.0
	v_mul_f32_e32 v28, v27, v26
	v_fma_f32 v29, -v11, v28, v27
	v_fmac_f32_e32 v28, v29, v26
	v_fma_f32 v11, -v11, v28, v27
	v_div_fmas_f32 v11, v11, v26, v28
	v_div_fixup_f32 v38, v11, v10, 1.0
.LBB13_33:
	s_or_b64 exec, exec, s[0:1]
	s_waitcnt vmcnt(0)
	v_lshlrev_b32_e32 v26, 16, v4
	v_and_b32_e32 v10, 0xffff0000, v4
	v_lshlrev_b32_e32 v11, 16, v5
	v_add_f32_e32 v39, v37, v26
	v_pk_add_f32 v[10:11], v[18:19], v[10:11]
	v_max_f32_e32 v26, 0xff7fffff, v39
	s_mov_b32 s2, 0xff7fffff
	v_cmp_ngt_f32_e32 vcc, v10, v26
	v_mov_b32_e32 v4, v26
	v_mov_b32_e32 v28, v10
	s_and_saveexec_b64 s[0:1], vcc
	s_cbranch_execz .LBB13_37
; %bb.34:
	v_cmp_lt_f32_e32 vcc, s2, v10
	v_mov_b32_e32 v4, 0xff7fffff
	s_and_saveexec_b64 s[2:3], vcc
; %bb.35:
	v_mov_b32_e32 v4, v10
; %bb.36:
	s_or_b64 exec, exec, s[2:3]
	v_mov_b32_e32 v28, v26
.LBB13_37:
	s_or_b64 exec, exec, s[0:1]
	v_cmp_ngt_f32_e32 vcc, v11, v28
	v_mov_b32_e32 v27, v28
	v_mov_b32_e32 v26, v11
	s_and_saveexec_b64 s[0:1], vcc
	s_cbranch_execz .LBB13_41
; %bb.38:
	v_cmp_gt_f32_e32 vcc, v11, v4
	s_and_saveexec_b64 s[2:3], vcc
; %bb.39:
	v_mov_b32_e32 v4, v11
; %bb.40:
	s_or_b64 exec, exec, s[2:3]
	v_mov_b32_e32 v27, v4
	v_mov_b32_e32 v26, v28
.LBB13_41:
	s_or_b64 exec, exec, s[0:1]
	v_and_b32_e32 v4, 0xffff0000, v5
	v_lshlrev_b32_e32 v5, 16, v6
	v_pk_add_f32 v[4:5], v[12:13], v[4:5]
	v_cmp_ngt_f32_e32 vcc, v4, v26
	v_mov_b32_e32 v31, v26
	v_mov_b32_e32 v30, v4
	s_and_saveexec_b64 s[0:1], vcc
	s_cbranch_execz .LBB13_45
; %bb.42:
	v_cmp_gt_f32_e32 vcc, v4, v27
	s_and_saveexec_b64 s[2:3], vcc
; %bb.43:
	v_mov_b32_e32 v27, v4
; %bb.44:
	s_or_b64 exec, exec, s[2:3]
	v_mov_b32_e32 v31, v27
	v_mov_b32_e32 v30, v26
.LBB13_45:
	s_or_b64 exec, exec, s[0:1]
	v_cmp_ngt_f32_e32 vcc, v5, v30
	v_mov_b32_e32 v29, v30
	v_mov_b32_e32 v28, v5
	s_and_saveexec_b64 s[0:1], vcc
	s_cbranch_execz .LBB13_49
; %bb.46:
	v_cmp_gt_f32_e32 vcc, v5, v31
	s_and_saveexec_b64 s[2:3], vcc
; %bb.47:
	v_mov_b32_e32 v31, v5
; %bb.48:
	s_or_b64 exec, exec, s[2:3]
	v_mov_b32_e32 v29, v31
	v_mov_b32_e32 v28, v30
.LBB13_49:
	s_or_b64 exec, exec, s[0:1]
	v_and_b32_e32 v26, 0xffff0000, v6
	v_lshlrev_b32_e32 v27, 16, v7
	v_pk_add_f32 v[26:27], v[20:21], v[26:27]
	v_cmp_ngt_f32_e32 vcc, v26, v28
	v_mov_b32_e32 v32, v28
	v_mov_b32_e32 v31, v26
	s_and_saveexec_b64 s[0:1], vcc
	s_cbranch_execz .LBB13_53
; %bb.50:
	v_cmp_gt_f32_e32 vcc, v26, v29
	s_and_saveexec_b64 s[2:3], vcc
; %bb.51:
	v_mov_b32_e32 v29, v26
; %bb.52:
	s_or_b64 exec, exec, s[2:3]
	v_mov_b32_e32 v32, v29
	v_mov_b32_e32 v31, v28
.LBB13_53:
	;; [unrolled: 35-line block ×6, first 2 shown]
	s_or_b64 exec, exec, s[0:1]
	v_cmp_ngt_f32_e32 vcc, v33, v35
	v_mov_b32_e32 v6, v35
	v_mov_b32_e32 v2, v33
	s_and_saveexec_b64 s[0:1], vcc
	s_cbranch_execz .LBB13_89
; %bb.86:
	v_cmp_gt_f32_e32 vcc, v33, v40
	s_and_saveexec_b64 s[2:3], vcc
; %bb.87:
	v_mov_b32_e32 v40, v33
; %bb.88:
	s_or_b64 exec, exec, s[2:3]
	v_mov_b32_e32 v6, v40
	v_mov_b32_e32 v2, v35
.LBB13_89:
	s_or_b64 exec, exec, s[0:1]
	v_and_b32_e32 v3, 0xffff0000, v3
	v_add_f32_e32 v41, v38, v3
	v_cmp_ngt_f32_e32 vcc, v41, v2
	v_mov_b32_e32 v3, v2
	v_mov_b32_e32 v7, v41
	s_and_saveexec_b64 s[0:1], vcc
	s_cbranch_execz .LBB13_93
; %bb.90:
	v_cmp_gt_f32_e32 vcc, v41, v6
	s_and_saveexec_b64 s[2:3], vcc
; %bb.91:
	v_mov_b32_e32 v6, v41
; %bb.92:
	s_or_b64 exec, exec, s[2:3]
	v_mov_b32_e32 v3, v6
	v_mov_b32_e32 v7, v2
.LBB13_93:
	s_or_b64 exec, exec, s[0:1]
	v_cmp_lt_i64_e64 s[0:1], s[46:47], 8
	v_lshlrev_b32_e32 v42, 4, v36
	s_and_b64 vcc, exec, s[0:1]
	s_cbranch_vccz .LBB13_96
; %bb.94:
	s_sub_u32 s6, 8, s46
	s_subb_u32 s7, 0, s47
	v_add_f32_e32 v2, v3, v7
	s_mov_b64 s[8:9], 0
	v_mov_b32_e32 v3, 0x7f7fffff
.LBB13_95:                              ; =>This Inner Loop Header: Depth=1
	v_mov_b32_dpp v6, v42 quad_perm:[1,0,3,2] row_mask:0xf bank_mask:0xf
	v_mov_b32_dpp v7, v2 quad_perm:[1,0,3,2] row_mask:0xf bank_mask:0xf
	v_cmp_eq_f32_e64 s[0:1], v2, v7
	v_cmp_lt_i32_e64 s[2:3], v42, v6
	v_cmp_lt_f32_e32 vcc, v2, v7
	s_and_b64 s[0:1], s[2:3], s[0:1]
	s_or_b64 vcc, vcc, s[0:1]
	v_cndmask_b32_e32 v7, v7, v2, vcc
	v_cndmask_b32_e32 v6, v6, v42, vcc
	s_nop 0
	v_mov_b32_dpp v40, v7 quad_perm:[2,3,0,1] row_mask:0xf bank_mask:0xf
	v_mov_b32_dpp v35, v6 quad_perm:[2,3,0,1] row_mask:0xf bank_mask:0xf
	v_cmp_eq_f32_e32 vcc, v7, v40
	v_cmp_lt_i32_e64 s[0:1], v6, v35
	s_and_b64 vcc, vcc, s[0:1]
	v_cmp_lt_f32_e64 s[0:1], v7, v40
	v_cndmask_b32_e32 v43, v40, v7, vcc
	s_or_b64 vcc, s[0:1], vcc
	v_cndmask_b32_e64 v7, v43, v7, s[0:1]
	v_cndmask_b32_e32 v6, v35, v6, vcc
	s_add_u32 s8, s8, 1
	v_mov_b32_dpp v40, v7 row_half_mirror row_mask:0xf bank_mask:0xf
	v_mov_b32_dpp v35, v6 row_half_mirror row_mask:0xf bank_mask:0xf
	v_min_i32_e32 v43, v6, v35
	v_cmp_eq_f32_e32 vcc, v7, v40
	v_cndmask_b32_e32 v35, v35, v43, vcc
	v_cmp_lt_f32_e32 vcc, v7, v40
	v_cndmask_b32_e32 v6, v35, v6, vcc
	v_ashrrev_i32_e32 v7, 31, v6
	v_lshrrev_b32_e32 v7, 28, v7
	v_add_u32_e32 v6, v6, v7
	v_ashrrev_i32_e32 v6, 4, v6
	s_addc_u32 s9, s9, 0
	v_cmp_eq_u32_e32 vcc, v36, v6
	v_pk_mov_b32 v[6:7], s[8:9], s[8:9] op_sel:[0,1]
	v_cndmask_b32_e32 v39, v39, v3, vcc
	v_cndmask_b32_e32 v2, v2, v3, vcc
	v_cmp_le_i64_e32 vcc, s[6:7], v[6:7]
	s_cbranch_vccz .LBB13_95
.LBB13_96:
	s_sub_u32 s36, s48, s50
	s_subb_u32 s37, s49, s51
	s_mov_b64 s[0:1], src_shared_base
	s_cmp_lg_u32 0, -1
	s_cselect_b32 s0, s1, 0
	s_cselect_b32 s1, 0, 0
	s_add_u32 s1, s1, 0xff
	s_addc_u32 s0, s0, 0
	s_and_b32 s1, s1, 0xffffff00
	v_mov_b32_e32 v2, s1
	v_mov_b32_e32 v3, s0
	v_lshlrev_b32_e32 v34, 2, v34
	v_mad_u64_u32 v[6:7], s[0:1], v34, s48, v[2:3]
	s_load_dword s33, s[4:5], 0x48
	v_mov_b32_e32 v2, v7
	v_mad_u64_u32 v[2:3], s[0:1], v34, s49, v[2:3]
	v_cmp_lt_i64_e64 s[0:1], s[36:37], 1
	v_mov_b32_e32 v7, v2
	s_and_b64 vcc, exec, s[0:1]
	v_cmp_eq_u32_e64 s[0:1], 0, v36
	s_cbranch_vccnz .LBB13_107
; %bb.97:
	s_waitcnt lgkmcnt(0)
	v_mad_u64_u32 v[2:3], s[2:3], s33, v16, 0
	s_ashr_i32 s6, s33, 31
	v_mov_b32_e32 v34, v3
	v_mad_u64_u32 v[34:35], s[2:3], s6, v16, v[34:35]
	v_mov_b32_e32 v3, v34
	v_lshlrev_b64 v[2:3], 2, v[2:3]
	v_mov_b32_e32 v34, s43
	v_add_co_u32_e32 v2, vcc, s42, v2
	v_addc_co_u32_e32 v3, vcc, v34, v3, vcc
	v_mul_u32_u24_e32 v43, 16, v36
	s_mov_b64 s[38:39], 0
	v_mov_b32_e32 v40, 0
	s_mov_b32 s52, 0x7f7fffff
	v_mov_b32_e32 v44, 0xff7fffff
	v_pk_mov_b32 v[34:35], v[6:7], v[6:7] op_sel:[0,1]
	s_branch .LBB13_99
.LBB13_98:                              ;   in Loop: Header=BB13_99 Depth=1
	s_or_b64 exec, exec, s[2:3]
	v_add_co_u32_e32 v2, vcc, 4, v2
	s_add_u32 s38, s38, 1
	v_addc_co_u32_e32 v3, vcc, 0, v3, vcc
	s_addc_u32 s39, s39, 0
	v_add_co_u32_e32 v34, vcc, 4, v34
	v_addc_co_u32_e32 v35, vcc, 0, v35, vcc
	v_pk_mov_b32 v[46:47], s[38:39], s[38:39] op_sel:[0,1]
	v_cmp_le_i64_e32 vcc, s[36:37], v[46:47]
	s_cbranch_vccnz .LBB13_108
.LBB13_99:                              ; =>This Inner Loop Header: Depth=1
	v_cmp_neq_f32_e32 vcc, s52, v39
	v_mov_b32_e32 v45, 0xff7fffff
	v_mov_b32_e32 v46, v42
	s_and_saveexec_b64 s[2:3], vcc
	s_cbranch_execz .LBB13_101
; %bb.100:                              ;   in Loop: Header=BB13_99 Depth=1
	v_cmp_gt_f32_e32 vcc, v10, v39
	v_cndmask_b32_e32 v45, v39, v10, vcc
	v_cndmask_b32_e64 v46, 0, 1, vcc
	v_cmp_gt_f32_e32 vcc, v11, v45
	v_cndmask_b32_e32 v45, v45, v11, vcc
	v_cndmask_b32_e64 v46, v46, 2, vcc
	;; [unrolled: 3-line block ×14, first 2 shown]
	v_cmp_gt_f32_e32 vcc, v41, v45
	v_cndmask_b32_e64 v46, v46, 15, vcc
	v_cndmask_b32_e32 v45, v45, v41, vcc
	v_or_b32_e32 v46, v46, v42
.LBB13_101:                             ;   in Loop: Header=BB13_99 Depth=1
	s_or_b64 exec, exec, s[2:3]
	s_nop 0
	v_mov_b32_dpp v47, v46 quad_perm:[1,0,3,2] row_mask:0xf bank_mask:0xf
	v_mov_b32_dpp v48, v45 quad_perm:[1,0,3,2] row_mask:0xf bank_mask:0xf
	v_cmp_eq_f32_e64 s[2:3], v45, v48
	v_cmp_lt_i32_e64 s[6:7], v46, v47
	v_cmp_gt_f32_e32 vcc, v45, v48
	s_and_b64 s[2:3], s[2:3], s[6:7]
	s_or_b64 vcc, vcc, s[2:3]
	v_cndmask_b32_e32 v45, v48, v45, vcc
	v_cndmask_b32_e32 v46, v47, v46, vcc
	s_nop 0
	v_mov_b32_dpp v48, v45 quad_perm:[2,3,0,1] row_mask:0xf bank_mask:0xf
	v_mov_b32_dpp v47, v46 quad_perm:[2,3,0,1] row_mask:0xf bank_mask:0xf
	v_cmp_eq_f32_e32 vcc, v45, v48
	v_cmp_lt_i32_e64 s[2:3], v46, v47
	s_and_b64 vcc, vcc, s[2:3]
	v_cmp_gt_f32_e64 s[2:3], v45, v48
	v_cndmask_b32_e32 v49, v48, v45, vcc
	s_or_b64 vcc, s[2:3], vcc
	v_cndmask_b32_e64 v45, v49, v45, s[2:3]
	v_cndmask_b32_e32 v46, v47, v46, vcc
	s_nop 0
	v_mov_b32_dpp v48, v45 row_half_mirror row_mask:0xf bank_mask:0xf
	v_mov_b32_dpp v47, v46 row_half_mirror row_mask:0xf bank_mask:0xf
	v_min_i32_e32 v49, v46, v47
	v_cmp_eq_f32_e32 vcc, v45, v48
	v_cndmask_b32_e32 v47, v47, v49, vcc
	v_cmp_gt_f32_e32 vcc, v45, v48
	v_cndmask_b32_e32 v45, v47, v46, vcc
	v_ashrrev_i32_e32 v46, 31, v45
	v_lshrrev_b32_e32 v46, 28, v46
	v_add_u32_e32 v46, v45, v46
	v_ashrrev_i32_e32 v46, 4, v46
	v_cmp_eq_u32_e32 vcc, v36, v46
	s_and_saveexec_b64 s[44:45], vcc
	s_cbranch_execz .LBB13_105
; %bb.102:                              ;   in Loop: Header=BB13_99 Depth=1
	v_sub_u32_e32 v46, v45, v43
	v_cmp_eq_u32_e64 s[28:29], 2, v46
	v_cmp_eq_u32_e64 s[30:31], 1, v46
	;; [unrolled: 1-line block ×14, first 2 shown]
	v_cmp_eq_u32_e32 vcc, 15, v46
	v_cmp_gt_u32_e64 s[34:35], 16, v46
	s_and_saveexec_b64 s[46:47], s[34:35]
	s_cbranch_execz .LBB13_104
; %bb.103:                              ;   in Loop: Header=BB13_99 Depth=1
	v_cndmask_b32_e64 v47, v37, v18, s[30:31]
	v_cndmask_b32_e64 v47, v47, v19, s[28:29]
	;; [unrolled: 1-line block ×14, first 2 shown]
	v_cndmask_b32_e32 v47, v47, v38, vcc
	flat_store_dword v[34:35], v47
.LBB13_104:                             ;   in Loop: Header=BB13_99 Depth=1
	s_or_b64 exec, exec, s[46:47]
	v_cmp_ne_u32_e64 s[34:35], 0, v46
	v_cndmask_b32_e64 v39, v44, v39, s[34:35]
	v_cndmask_b32_e64 v11, v11, v44, s[28:29]
	;; [unrolled: 1-line block ×15, first 2 shown]
	v_cndmask_b32_e32 v41, v41, v44, vcc
	global_store_dword v[2:3], v45, off
.LBB13_105:                             ;   in Loop: Header=BB13_99 Depth=1
	s_or_b64 exec, exec, s[44:45]
	s_waitcnt lgkmcnt(0)
	s_barrier
	s_and_saveexec_b64 s[2:3], s[0:1]
	s_cbranch_execz .LBB13_98
; %bb.106:                              ;   in Loop: Header=BB13_99 Depth=1
	flat_load_dword v45, v[34:35]
	s_waitcnt vmcnt(0) lgkmcnt(0)
	v_add_f32_e32 v40, v40, v45
	s_branch .LBB13_98
.LBB13_107:
	v_mov_b32_e32 v40, 0
.LBB13_108:
	v_cmp_eq_u32_e64 s[0:1], 0, v36
	v_cmp_gt_i64_e64 s[2:3], s[50:51], 0
	s_and_b64 s[6:7], s[0:1], s[2:3]
	s_and_saveexec_b64 s[2:3], s[6:7]
	s_cbranch_execz .LBB13_121
; %bb.109:
	v_cmp_le_u64_e32 vcc, s[50:51], v[16:17]
	v_pk_mov_b32 v[0:1], v[16:17], v[16:17] op_sel:[0,1]
	s_and_saveexec_b64 s[6:7], vcc
	s_cbranch_execz .LBB13_111
; %bb.110:
	v_cvt_f32_u32_e32 v0, s50
	s_sub_i32 s8, 0, s50
	v_rcp_iflag_f32_e32 v0, v0
	v_mul_f32_e32 v0, 0x4f7ffffe, v0
	v_cvt_u32_f32_e32 v0, v0
	v_mul_lo_u32 v1, s8, v0
	v_mul_hi_u32 v1, v0, v1
	v_add_u32_e32 v0, v0, v1
	v_mul_hi_u32 v0, v16, v0
	v_mul_lo_u32 v0, v0, s50
	v_sub_u32_e32 v0, v16, v0
	v_subrev_u32_e32 v1, s50, v0
	v_cmp_le_u32_e32 vcc, s50, v0
	v_cndmask_b32_e32 v0, v0, v1, vcc
	v_subrev_u32_e32 v1, s50, v0
	v_cmp_le_u32_e32 vcc, s50, v0
	v_cndmask_b32_e32 v0, v0, v1, vcc
	v_mov_b32_e32 v1, 0
.LBB13_111:
	s_or_b64 exec, exec, s[6:7]
	s_load_dwordx2 s[4:5], s[4:5], 0x40
	v_cvt_f64_f32_e32 v[8:9], v40
	v_pk_mov_b32 v[2:3], s[36:37], s[36:37] op_sel:[0,1]
	s_waitcnt lgkmcnt(0)
	v_mad_u64_u32 v[10:11], s[6:7], s33, v16, v[2:3]
	v_div_scale_f64 v[12:13], s[6:7], s[4:5], s[4:5], v[8:9]
	v_rcp_f64_e32 v[14:15], v[12:13]
	s_ashr_i32 s8, s33, 31
	v_mov_b32_e32 v2, v11
	v_mad_u64_u32 v[2:3], s[6:7], s8, v16, v[2:3]
	v_mov_b32_e32 v11, v2
	v_lshlrev_b64 v[2:3], 2, v[10:11]
	v_fma_f64 v[18:19], -v[12:13], v[14:15], 1.0
	v_mov_b32_e32 v5, s43
	v_add_co_u32_e32 v4, vcc, s42, v2
	v_fmac_f64_e32 v[14:15], v[14:15], v[18:19]
	v_addc_co_u32_e32 v5, vcc, v5, v3, vcc
	v_fma_f64 v[18:19], -v[12:13], v[14:15], 1.0
	v_fmac_f64_e32 v[14:15], v[14:15], v[18:19]
	v_div_scale_f64 v[18:19], vcc, v[8:9], s[4:5], v[8:9]
	v_mul_f64 v[20:21], v[18:19], v[14:15]
	v_fma_f64 v[12:13], -v[12:13], v[20:21], v[18:19]
	v_add_u32_e32 v17, 0x80, v0
	s_nop 0
	v_div_fmas_f64 v[12:13], v[12:13], v[14:15], v[20:21]
	v_div_fixup_f64 v[8:9], v[12:13], s[4:5], v[8:9]
	v_cvt_f32_f64_e32 v8, v[8:9]
	v_mov_b32_e32 v9, s41
	v_add_co_u32_e32 v14, vcc, s40, v2
	v_addc_co_u32_e32 v15, vcc, v9, v3, vcc
	v_cmp_lt_u64_e64 s[4:5], s[50:51], 2
	s_and_b64 vcc, exec, s[4:5]
	global_store_dword v[4:5], v17, off
	global_store_dword v[14:15], v8, off
	s_cbranch_vccnz .LBB13_121
; %bb.112:
	s_cmp_eq_u64 s[50:51], 2
	s_cbranch_scc1 .LBB13_117
; %bb.113:
	v_add_co_u32_e32 v2, vcc, 1, v0
	v_addc_co_u32_e32 v3, vcc, 0, v1, vcc
	s_add_u32 s4, s50, -1
	v_add_co_u32_e32 v12, vcc, 4, v4
	s_addc_u32 s5, s51, -1
	v_addc_co_u32_e32 v13, vcc, 0, v5, vcc
	s_and_b32 s6, s4, -2
	s_mov_b32 s7, s5
	v_add_co_u32_e32 v14, vcc, 4, v14
	v_pk_mov_b32 v[4:5], v[2:3], v[2:3] op_sel:[0,1]
	v_mov_b32_e32 v9, v8
	v_addc_co_u32_e32 v15, vcc, 0, v15, vcc
	s_mov_b64 s[8:9], s[6:7]
	v_pk_mov_b32 v[2:3], v[0:1], v[0:1] op_sel:[0,1]
.LBB13_114:                             ; =>This Inner Loop Header: Depth=1
	v_add_u32_e32 v19, 0x81, v4
	v_add_co_u32_e32 v4, vcc, 2, v4
	v_addc_co_u32_e32 v5, vcc, 0, v5, vcc
	v_add_u32_e32 v18, 0x81, v2
	v_add_co_u32_e32 v2, vcc, 2, v2
	v_addc_co_u32_e32 v3, vcc, 0, v3, vcc
	global_store_dwordx2 v[14:15], v[8:9], off
	v_add_co_u32_e32 v14, vcc, 8, v14
	v_addc_co_u32_e32 v15, vcc, 0, v15, vcc
	s_add_u32 s8, s8, -2
	global_store_dwordx2 v[12:13], v[18:19], off
	s_addc_u32 s9, s9, -1
	v_add_co_u32_e32 v12, vcc, 8, v12
	s_cmp_lg_u64 s[8:9], 0
	v_addc_co_u32_e32 v13, vcc, 0, v13, vcc
	s_cbranch_scc1 .LBB13_114
; %bb.115:
	s_cmp_eq_u64 s[4:5], s[6:7]
	s_cbranch_scc1 .LBB13_118
; %bb.116:
	v_mov_b32_e32 v1, s7
	v_add_co_u32_e32 v10, vcc, s6, v10
	s_or_b32 s4, s4, 1
	v_add_u32_e32 v0, s6, v0
	v_addc_co_u32_e32 v11, vcc, v11, v1, vcc
	s_cbranch_execnz .LBB13_119
	s_branch .LBB13_121
.LBB13_117:
	s_mov_b32 s4, 1
	s_cbranch_execnz .LBB13_119
	s_branch .LBB13_121
.LBB13_118:
	s_mov_b32 s4, 1
                                        ; implicit-def: $vgpr10_vgpr11
                                        ; implicit-def: $vgpr0
	s_branch .LBB13_121
.LBB13_119:
	v_add_u32_e32 v9, 0x81, v0
	v_lshlrev_b64 v[0:1], 2, v[10:11]
	v_add_co_u32_e32 v2, vcc, 4, v0
	v_addc_co_u32_e32 v3, vcc, 0, v1, vcc
	v_mov_b32_e32 v1, s41
	v_add_co_u32_e32 v0, vcc, s40, v2
	v_addc_co_u32_e32 v1, vcc, v1, v3, vcc
	v_mov_b32_e32 v4, s43
	v_add_co_u32_e32 v2, vcc, s42, v2
	s_mov_b32 s5, 0
	v_addc_co_u32_e32 v3, vcc, v4, v3, vcc
	v_pk_mov_b32 v[4:5], s[50:51], s[50:51] op_sel:[0,1]
.LBB13_120:                             ; =>This Inner Loop Header: Depth=1
	global_store_dword v[2:3], v9, off
	global_store_dword v[0:1], v8, off
	v_add_co_u32_e32 v0, vcc, 4, v0
	v_addc_co_u32_e32 v1, vcc, 0, v1, vcc
	s_add_u32 s4, s4, 1
	v_add_co_u32_e32 v2, vcc, 4, v2
	v_addc_co_u32_e32 v3, vcc, 0, v3, vcc
	s_addc_u32 s5, s5, 0
	v_cmp_lt_u64_e32 vcc, s[4:5], v[4:5]
	v_add_u32_e32 v9, 1, v9
	s_cbranch_vccnz .LBB13_120
.LBB13_121:
	s_or_b64 exec, exec, s[2:3]
	v_cmp_gt_i64_e64 s[4:5], s[48:49], 0
	s_mov_b64 s[2:3], 0
	s_and_b64 s[0:1], s[0:1], s[4:5]
	s_waitcnt lgkmcnt(0)
	s_barrier
	s_and_b64 exec, exec, s[0:1]
	s_cbranch_execz .LBB13_128
; %bb.122:
	v_mad_u64_u32 v[0:1], s[0:1], s33, v16, 0
	s_ashr_i32 s4, s33, 31
	v_mov_b32_e32 v2, v1
	v_mad_u64_u32 v[2:3], s[0:1], s4, v16, v[2:3]
	v_mov_b32_e32 v1, v2
	v_lshlrev_b64 v[0:1], 2, v[0:1]
	v_mov_b32_e32 v2, s41
	v_add_co_u32_e32 v4, vcc, s40, v0
	v_addc_co_u32_e32 v5, vcc, v2, v1, vcc
	v_cmp_lt_u64_e64 s[0:1], s[48:49], 8
	s_and_b64 vcc, exec, s[0:1]
	s_cbranch_vccnz .LBB13_125
; %bb.123:
	s_and_b32 s3, s49, 0x7fffffff
	s_and_b32 s2, s48, -8
	s_mov_b64 s[0:1], 0
	s_mov_b64 s[4:5], s[2:3]
.LBB13_124:                             ; =>This Inner Loop Header: Depth=1
	v_mov_b32_e32 v1, s1
	v_add_co_u32_e32 v2, vcc, s0, v6
	v_addc_co_u32_e32 v3, vcc, v7, v1, vcc
	flat_load_dword v8, v[2:3]
	v_add_co_u32_e32 v0, vcc, s0, v4
	v_addc_co_u32_e32 v1, vcc, v5, v1, vcc
	s_add_u32 s0, s0, 32
	s_addc_u32 s1, s1, 0
	s_add_u32 s4, s4, -8
	s_addc_u32 s5, s5, -1
	s_cmp_lg_u64 s[4:5], 0
	s_waitcnt vmcnt(0) lgkmcnt(0)
	v_div_scale_f32 v9, s[6:7], v40, v40, v8
	v_rcp_f32_e32 v11, v9
	v_div_scale_f32 v10, vcc, v8, v40, v8
	v_fma_f32 v12, -v9, v11, 1.0
	v_fmac_f32_e32 v11, v12, v11
	v_mul_f32_e32 v12, v10, v11
	v_fma_f32 v13, -v9, v12, v10
	v_fmac_f32_e32 v12, v13, v11
	v_fma_f32 v9, -v9, v12, v10
	v_div_fmas_f32 v9, v9, v11, v12
	v_div_fixup_f32 v8, v9, v40, v8
	global_store_dword v[0:1], v8, off
	flat_load_dword v8, v[2:3] offset:4
	s_waitcnt vmcnt(0) lgkmcnt(0)
	v_div_scale_f32 v9, s[6:7], v40, v40, v8
	v_rcp_f32_e32 v11, v9
	v_div_scale_f32 v10, vcc, v8, v40, v8
	v_fma_f32 v12, -v9, v11, 1.0
	v_fmac_f32_e32 v11, v12, v11
	v_mul_f32_e32 v12, v10, v11
	v_fma_f32 v13, -v9, v12, v10
	v_fmac_f32_e32 v12, v13, v11
	v_fma_f32 v9, -v9, v12, v10
	v_div_fmas_f32 v9, v9, v11, v12
	v_div_fixup_f32 v8, v9, v40, v8
	global_store_dword v[0:1], v8, off offset:4
	flat_load_dword v8, v[2:3] offset:8
	s_waitcnt vmcnt(0) lgkmcnt(0)
	v_div_scale_f32 v9, s[6:7], v40, v40, v8
	v_rcp_f32_e32 v11, v9
	v_div_scale_f32 v10, vcc, v8, v40, v8
	v_fma_f32 v12, -v9, v11, 1.0
	v_fmac_f32_e32 v11, v12, v11
	v_mul_f32_e32 v12, v10, v11
	v_fma_f32 v13, -v9, v12, v10
	v_fmac_f32_e32 v12, v13, v11
	v_fma_f32 v9, -v9, v12, v10
	v_div_fmas_f32 v9, v9, v11, v12
	v_div_fixup_f32 v8, v9, v40, v8
	global_store_dword v[0:1], v8, off offset:8
	;; [unrolled: 14-line block ×7, first 2 shown]
	s_cbranch_scc1 .LBB13_124
.LBB13_125:
	s_and_b32 s0, s48, 7
	s_mov_b32 s1, 0
	s_cmp_eq_u64 s[0:1], 0
	s_cbranch_scc1 .LBB13_128
; %bb.126:
	s_mov_b64 s[4:5], s[0:1]
.LBB13_127:                             ; =>This Inner Loop Header: Depth=1
	s_lshl_b64 s[6:7], s[2:3], 2
	v_mov_b32_e32 v2, s7
	v_add_co_u32_e32 v0, vcc, s6, v6
	v_addc_co_u32_e32 v1, vcc, v7, v2, vcc
	flat_load_dword v3, v[0:1]
	v_add_co_u32_e32 v0, vcc, s6, v4
	v_addc_co_u32_e32 v1, vcc, v5, v2, vcc
	s_add_i32 s0, s2, 1
	s_add_u32 s4, s4, -1
	s_addc_u32 s5, s5, -1
	s_mov_b64 s[2:3], s[0:1]
	s_cmp_lg_u64 s[4:5], 0
	s_waitcnt vmcnt(0) lgkmcnt(0)
	v_div_scale_f32 v2, s[6:7], v40, v40, v3
	v_rcp_f32_e32 v8, v2
	v_div_scale_f32 v9, vcc, v3, v40, v3
	v_fma_f32 v10, -v2, v8, 1.0
	v_fmac_f32_e32 v8, v10, v8
	v_mul_f32_e32 v10, v9, v8
	v_fma_f32 v11, -v2, v10, v9
	v_fmac_f32_e32 v10, v11, v8
	v_fma_f32 v2, -v2, v10, v9
	v_div_fmas_f32 v2, v2, v8, v10
	v_div_fixup_f32 v2, v2, v40, v3
	global_store_dword v[0:1], v2, off
	s_cbranch_scc1 .LBB13_127
.LBB13_128:
	s_endpgm
	.section	.rodata,"a",@progbits
	.p2align	6, 0x0
	.amdhsa_kernel _Z21moe_fused_gate_kernelItLi16ELi128ELi8ELi1EEvPvS0_PfPilllldi
		.amdhsa_group_segment_fixed_size 0
		.amdhsa_private_segment_fixed_size 0
		.amdhsa_kernarg_size 76
		.amdhsa_user_sgpr_count 6
		.amdhsa_user_sgpr_private_segment_buffer 1
		.amdhsa_user_sgpr_dispatch_ptr 0
		.amdhsa_user_sgpr_queue_ptr 0
		.amdhsa_user_sgpr_kernarg_segment_ptr 1
		.amdhsa_user_sgpr_dispatch_id 0
		.amdhsa_user_sgpr_flat_scratch_init 0
		.amdhsa_user_sgpr_kernarg_preload_length 0
		.amdhsa_user_sgpr_kernarg_preload_offset 0
		.amdhsa_user_sgpr_private_segment_size 0
		.amdhsa_uses_dynamic_stack 0
		.amdhsa_system_sgpr_private_segment_wavefront_offset 0
		.amdhsa_system_sgpr_workgroup_id_x 1
		.amdhsa_system_sgpr_workgroup_id_y 0
		.amdhsa_system_sgpr_workgroup_id_z 0
		.amdhsa_system_sgpr_workgroup_info 0
		.amdhsa_system_vgpr_workitem_id 1
		.amdhsa_next_free_vgpr 50
		.amdhsa_next_free_sgpr 53
		.amdhsa_accum_offset 52
		.amdhsa_reserve_vcc 1
		.amdhsa_reserve_flat_scratch 0
		.amdhsa_float_round_mode_32 0
		.amdhsa_float_round_mode_16_64 0
		.amdhsa_float_denorm_mode_32 3
		.amdhsa_float_denorm_mode_16_64 3
		.amdhsa_dx10_clamp 1
		.amdhsa_ieee_mode 1
		.amdhsa_fp16_overflow 0
		.amdhsa_tg_split 0
		.amdhsa_exception_fp_ieee_invalid_op 0
		.amdhsa_exception_fp_denorm_src 0
		.amdhsa_exception_fp_ieee_div_zero 0
		.amdhsa_exception_fp_ieee_overflow 0
		.amdhsa_exception_fp_ieee_underflow 0
		.amdhsa_exception_fp_ieee_inexact 0
		.amdhsa_exception_int_div_zero 0
	.end_amdhsa_kernel
	.section	.text._Z21moe_fused_gate_kernelItLi16ELi128ELi8ELi1EEvPvS0_PfPilllldi,"axG",@progbits,_Z21moe_fused_gate_kernelItLi16ELi128ELi8ELi1EEvPvS0_PfPilllldi,comdat
.Lfunc_end13:
	.size	_Z21moe_fused_gate_kernelItLi16ELi128ELi8ELi1EEvPvS0_PfPilllldi, .Lfunc_end13-_Z21moe_fused_gate_kernelItLi16ELi128ELi8ELi1EEvPvS0_PfPilllldi
                                        ; -- End function
	.section	.AMDGPU.csdata,"",@progbits
; Kernel info:
; codeLenInByte = 7408
; NumSgprs: 57
; NumVgprs: 50
; NumAgprs: 0
; TotalNumVgprs: 50
; ScratchSize: 0
; MemoryBound: 0
; FloatMode: 240
; IeeeMode: 1
; LDSByteSize: 0 bytes/workgroup (compile time only)
; SGPRBlocks: 7
; VGPRBlocks: 6
; NumSGPRsForWavesPerEU: 57
; NumVGPRsForWavesPerEU: 50
; AccumOffset: 52
; Occupancy: 8
; WaveLimiterHint : 0
; COMPUTE_PGM_RSRC2:SCRATCH_EN: 0
; COMPUTE_PGM_RSRC2:USER_SGPR: 6
; COMPUTE_PGM_RSRC2:TRAP_HANDLER: 0
; COMPUTE_PGM_RSRC2:TGID_X_EN: 1
; COMPUTE_PGM_RSRC2:TGID_Y_EN: 0
; COMPUTE_PGM_RSRC2:TGID_Z_EN: 0
; COMPUTE_PGM_RSRC2:TIDIG_COMP_CNT: 1
; COMPUTE_PGM_RSRC3_GFX90A:ACCUM_OFFSET: 12
; COMPUTE_PGM_RSRC3_GFX90A:TG_SPLIT: 0
	.section	.text._Z21moe_fused_gate_kernelIDF16_Li16ELi128ELi8ELi1EEvPvS0_PfPilllldi,"axG",@progbits,_Z21moe_fused_gate_kernelIDF16_Li16ELi128ELi8ELi1EEvPvS0_PfPilllldi,comdat
	.protected	_Z21moe_fused_gate_kernelIDF16_Li16ELi128ELi8ELi1EEvPvS0_PfPilllldi ; -- Begin function _Z21moe_fused_gate_kernelIDF16_Li16ELi128ELi8ELi1EEvPvS0_PfPilllldi
	.globl	_Z21moe_fused_gate_kernelIDF16_Li16ELi128ELi8ELi1EEvPvS0_PfPilllldi
	.p2align	8
	.type	_Z21moe_fused_gate_kernelIDF16_Li16ELi128ELi8ELi1EEvPvS0_PfPilllldi,@function
_Z21moe_fused_gate_kernelIDF16_Li16ELi128ELi8ELi1EEvPvS0_PfPilllldi: ; @_Z21moe_fused_gate_kernelIDF16_Li16ELi128ELi8ELi1EEvPvS0_PfPilllldi
; %bb.0:
	s_load_dwordx16 s[36:51], s[4:5], 0x0
	v_and_b32_e32 v1, 0x3ff, v0
	v_bfe_u32 v0, v0, 10, 10
	v_add_u32_e32 v0, s6, v0
	v_lshrrev_b32_e32 v32, 3, v1
	v_mov_b32_e32 v37, 0
	v_lshl_add_u32 v16, v0, 3, v32
	v_mov_b32_e32 v17, v37
	s_waitcnt lgkmcnt(0)
	v_cmp_gt_i64_e32 vcc, s[44:45], v[16:17]
	s_and_saveexec_b64 s[0:1], vcc
	s_cbranch_execz .LBB14_128
; %bb.1:
	v_lshlrev_b64 v[2:3], 8, v[16:17]
	v_mov_b32_e32 v0, s37
	v_add_co_u32_e32 v2, vcc, s36, v2
	v_and_b32_e32 v36, 7, v1
	v_addc_co_u32_e32 v0, vcc, v0, v3, vcc
	v_lshlrev_b32_e32 v20, 5, v36
	v_add_co_u32_e32 v18, vcc, v2, v20
	v_addc_co_u32_e32 v19, vcc, 0, v0, vcc
	global_load_dwordx4 v[8:11], v[18:19], off offset:16
	global_load_dwordx4 v[12:15], v[18:19], off
	global_load_dwordx4 v[0:3], v20, s[38:39] offset:16
	global_load_dwordx4 v[4:7], v20, s[38:39]
	s_waitcnt vmcnt(2)
	v_cmp_o_f16_e32 vcc, v12, v12
	s_and_saveexec_b64 s[0:1], vcc
	s_cbranch_execz .LBB14_3
; %bb.2:
	v_cvt_f32_f16_e64 v18, -v12
	s_mov_b32 s2, 0x3fb8aa3b
	s_mov_b32 s3, 0x32a5705f
	v_mul_f32_e32 v19, 0x3fb8aa3b, v18
	v_rndne_f32_e32 v20, v19
	v_fma_mix_f32 v21, -v12, s2, -v19 op_sel_hi:[1,0,0]
	v_sub_f32_e32 v19, v19, v20
	v_fma_mix_f32 v21, -v12, s3, v21 op_sel_hi:[1,0,0]
	v_add_f32_e32 v19, v19, v21
	v_cvt_i32_f32_e32 v20, v20
	v_exp_f32_e32 v19, v19
	s_mov_b32 s2, 0xc2ce8ed0
	v_cmp_ngt_f32_e32 vcc, s2, v18
	s_mov_b32 s2, 0x42b17218
	v_ldexp_f32 v19, v19, v20
	v_cndmask_b32_e32 v19, 0, v19, vcc
	v_mov_b32_e32 v20, 0x7f800000
	v_cmp_nlt_f32_e32 vcc, s2, v18
	v_cndmask_b32_e32 v18, v20, v19, vcc
	v_add_f32_e32 v18, 1.0, v18
	v_div_scale_f32 v19, s[2:3], v18, v18, 1.0
	v_rcp_f32_e32 v20, v19
	v_fma_f32 v21, -v19, v20, 1.0
	v_fmac_f32_e32 v20, v21, v20
	v_div_scale_f32 v21, vcc, 1.0, v18, 1.0
	v_mul_f32_e32 v22, v21, v20
	v_fma_f32 v23, -v19, v22, v21
	v_fmac_f32_e32 v22, v23, v20
	v_fma_f32 v19, -v19, v22, v21
	v_div_fmas_f32 v19, v19, v20, v22
	v_div_fixup_f32 v37, v19, v18, 1.0
.LBB14_3:
	s_or_b64 exec, exec, s[0:1]
	v_lshrrev_b32_e32 v18, 16, v12
	v_cmp_o_f16_e32 vcc, v18, v18
	v_mov_b32_e32 v12, 0
	v_mov_b32_e32 v38, 0
	s_and_saveexec_b64 s[0:1], vcc
	s_cbranch_execz .LBB14_5
; %bb.4:
	v_cvt_f32_f16_e64 v19, -v18
	s_mov_b32 s2, 0x3fb8aa3b
	s_mov_b32 s3, 0x32a5705f
	v_mul_f32_e32 v20, 0x3fb8aa3b, v19
	v_rndne_f32_e32 v21, v20
	v_fma_mix_f32 v22, -v18, s2, -v20 op_sel_hi:[1,0,0]
	v_sub_f32_e32 v20, v20, v21
	v_fma_mix_f32 v18, -v18, s3, v22 op_sel_hi:[1,0,0]
	v_add_f32_e32 v18, v20, v18
	v_cvt_i32_f32_e32 v20, v21
	v_exp_f32_e32 v18, v18
	s_mov_b32 s2, 0xc2ce8ed0
	v_cmp_ngt_f32_e32 vcc, s2, v19
	s_mov_b32 s2, 0x42b17218
	v_ldexp_f32 v18, v18, v20
	v_cndmask_b32_e32 v18, 0, v18, vcc
	v_mov_b32_e32 v20, 0x7f800000
	v_cmp_nlt_f32_e32 vcc, s2, v19
	v_cndmask_b32_e32 v18, v20, v18, vcc
	v_add_f32_e32 v18, 1.0, v18
	v_div_scale_f32 v19, s[2:3], v18, v18, 1.0
	v_rcp_f32_e32 v20, v19
	v_fma_f32 v21, -v19, v20, 1.0
	v_fmac_f32_e32 v20, v21, v20
	v_div_scale_f32 v21, vcc, 1.0, v18, 1.0
	v_mul_f32_e32 v22, v21, v20
	v_fma_f32 v23, -v19, v22, v21
	v_fmac_f32_e32 v22, v23, v20
	v_fma_f32 v19, -v19, v22, v21
	v_div_fmas_f32 v19, v19, v20, v22
	v_div_fixup_f32 v38, v19, v18, 1.0
.LBB14_5:
	s_or_b64 exec, exec, s[0:1]
	v_cmp_o_f16_e32 vcc, v13, v13
	s_and_saveexec_b64 s[0:1], vcc
	s_cbranch_execz .LBB14_7
; %bb.6:
	v_cvt_f32_f16_e64 v12, -v13
	s_mov_b32 s2, 0x3fb8aa3b
	s_mov_b32 s3, 0x32a5705f
	v_mul_f32_e32 v18, 0x3fb8aa3b, v12
	v_rndne_f32_e32 v19, v18
	v_fma_mix_f32 v20, -v13, s2, -v18 op_sel_hi:[1,0,0]
	v_sub_f32_e32 v18, v18, v19
	v_fma_mix_f32 v20, -v13, s3, v20 op_sel_hi:[1,0,0]
	v_add_f32_e32 v18, v18, v20
	v_cvt_i32_f32_e32 v19, v19
	v_exp_f32_e32 v18, v18
	s_mov_b32 s2, 0xc2ce8ed0
	v_cmp_ngt_f32_e32 vcc, s2, v12
	s_mov_b32 s2, 0x42b17218
	v_ldexp_f32 v18, v18, v19
	v_cndmask_b32_e32 v18, 0, v18, vcc
	v_mov_b32_e32 v19, 0x7f800000
	v_cmp_nlt_f32_e32 vcc, s2, v12
	v_cndmask_b32_e32 v12, v19, v18, vcc
	v_add_f32_e32 v12, 1.0, v12
	v_div_scale_f32 v18, s[2:3], v12, v12, 1.0
	v_rcp_f32_e32 v19, v18
	v_fma_f32 v20, -v18, v19, 1.0
	v_fmac_f32_e32 v19, v20, v19
	v_div_scale_f32 v20, vcc, 1.0, v12, 1.0
	v_mul_f32_e32 v21, v20, v19
	v_fma_f32 v22, -v18, v21, v20
	v_fmac_f32_e32 v21, v22, v19
	v_fma_f32 v18, -v18, v21, v20
	v_div_fmas_f32 v18, v18, v19, v21
	v_div_fixup_f32 v12, v18, v12, 1.0
.LBB14_7:
	s_or_b64 exec, exec, s[0:1]
	v_lshrrev_b32_e32 v19, 16, v13
	v_cmp_o_f16_e32 vcc, v19, v19
	v_mov_b32_e32 v18, 0
	v_mov_b32_e32 v13, 0
	s_and_saveexec_b64 s[0:1], vcc
	s_cbranch_execz .LBB14_9
; %bb.8:
	v_cvt_f32_f16_e64 v13, -v19
	s_mov_b32 s2, 0x3fb8aa3b
	s_mov_b32 s3, 0x32a5705f
	v_mul_f32_e32 v20, 0x3fb8aa3b, v13
	v_rndne_f32_e32 v21, v20
	v_fma_mix_f32 v22, -v19, s2, -v20 op_sel_hi:[1,0,0]
	v_sub_f32_e32 v20, v20, v21
	v_fma_mix_f32 v19, -v19, s3, v22 op_sel_hi:[1,0,0]
	v_add_f32_e32 v19, v20, v19
	v_cvt_i32_f32_e32 v20, v21
	v_exp_f32_e32 v19, v19
	s_mov_b32 s2, 0xc2ce8ed0
	v_cmp_ngt_f32_e32 vcc, s2, v13
	s_mov_b32 s2, 0x42b17218
	v_ldexp_f32 v19, v19, v20
	v_cndmask_b32_e32 v19, 0, v19, vcc
	v_mov_b32_e32 v20, 0x7f800000
	v_cmp_nlt_f32_e32 vcc, s2, v13
	v_cndmask_b32_e32 v13, v20, v19, vcc
	v_add_f32_e32 v13, 1.0, v13
	v_div_scale_f32 v19, s[2:3], v13, v13, 1.0
	v_rcp_f32_e32 v20, v19
	v_fma_f32 v21, -v19, v20, 1.0
	v_fmac_f32_e32 v20, v21, v20
	v_div_scale_f32 v21, vcc, 1.0, v13, 1.0
	v_mul_f32_e32 v22, v21, v20
	v_fma_f32 v23, -v19, v22, v21
	v_fmac_f32_e32 v22, v23, v20
	v_fma_f32 v19, -v19, v22, v21
	v_div_fmas_f32 v19, v19, v20, v22
	v_div_fixup_f32 v13, v19, v13, 1.0
.LBB14_9:
	s_or_b64 exec, exec, s[0:1]
	v_cmp_o_f16_e32 vcc, v14, v14
	s_and_saveexec_b64 s[0:1], vcc
	s_cbranch_execz .LBB14_11
; %bb.10:
	v_cvt_f32_f16_e64 v18, -v14
	s_mov_b32 s2, 0x3fb8aa3b
	s_mov_b32 s3, 0x32a5705f
	v_mul_f32_e32 v19, 0x3fb8aa3b, v18
	v_rndne_f32_e32 v20, v19
	v_fma_mix_f32 v21, -v14, s2, -v19 op_sel_hi:[1,0,0]
	v_sub_f32_e32 v19, v19, v20
	v_fma_mix_f32 v21, -v14, s3, v21 op_sel_hi:[1,0,0]
	v_add_f32_e32 v19, v19, v21
	v_cvt_i32_f32_e32 v20, v20
	v_exp_f32_e32 v19, v19
	s_mov_b32 s2, 0xc2ce8ed0
	v_cmp_ngt_f32_e32 vcc, s2, v18
	s_mov_b32 s2, 0x42b17218
	v_ldexp_f32 v19, v19, v20
	v_cndmask_b32_e32 v19, 0, v19, vcc
	v_mov_b32_e32 v20, 0x7f800000
	v_cmp_nlt_f32_e32 vcc, s2, v18
	v_cndmask_b32_e32 v18, v20, v19, vcc
	v_add_f32_e32 v18, 1.0, v18
	v_div_scale_f32 v19, s[2:3], v18, v18, 1.0
	v_rcp_f32_e32 v20, v19
	v_fma_f32 v21, -v19, v20, 1.0
	v_fmac_f32_e32 v20, v21, v20
	v_div_scale_f32 v21, vcc, 1.0, v18, 1.0
	v_mul_f32_e32 v22, v21, v20
	v_fma_f32 v23, -v19, v22, v21
	v_fmac_f32_e32 v22, v23, v20
	v_fma_f32 v19, -v19, v22, v21
	v_div_fmas_f32 v19, v19, v20, v22
	v_div_fixup_f32 v18, v19, v18, 1.0
.LBB14_11:
	s_or_b64 exec, exec, s[0:1]
	v_lshrrev_b32_e32 v20, 16, v14
	v_cmp_o_f16_e32 vcc, v20, v20
	v_mov_b32_e32 v14, 0
	v_mov_b32_e32 v19, 0
	s_and_saveexec_b64 s[0:1], vcc
	s_cbranch_execz .LBB14_13
; %bb.12:
	v_cvt_f32_f16_e64 v19, -v20
	s_mov_b32 s2, 0x3fb8aa3b
	s_mov_b32 s3, 0x32a5705f
	v_mul_f32_e32 v21, 0x3fb8aa3b, v19
	v_rndne_f32_e32 v22, v21
	v_fma_mix_f32 v23, -v20, s2, -v21 op_sel_hi:[1,0,0]
	v_sub_f32_e32 v21, v21, v22
	v_fma_mix_f32 v20, -v20, s3, v23 op_sel_hi:[1,0,0]
	v_add_f32_e32 v20, v21, v20
	v_cvt_i32_f32_e32 v21, v22
	v_exp_f32_e32 v20, v20
	s_mov_b32 s2, 0xc2ce8ed0
	v_cmp_ngt_f32_e32 vcc, s2, v19
	s_mov_b32 s2, 0x42b17218
	v_ldexp_f32 v20, v20, v21
	v_cndmask_b32_e32 v20, 0, v20, vcc
	v_mov_b32_e32 v21, 0x7f800000
	v_cmp_nlt_f32_e32 vcc, s2, v19
	v_cndmask_b32_e32 v19, v21, v20, vcc
	v_add_f32_e32 v19, 1.0, v19
	v_div_scale_f32 v20, s[2:3], v19, v19, 1.0
	v_rcp_f32_e32 v21, v20
	v_fma_f32 v22, -v20, v21, 1.0
	v_fmac_f32_e32 v21, v22, v21
	v_div_scale_f32 v22, vcc, 1.0, v19, 1.0
	v_mul_f32_e32 v23, v22, v21
	v_fma_f32 v24, -v20, v23, v22
	v_fmac_f32_e32 v23, v24, v21
	v_fma_f32 v20, -v20, v23, v22
	v_div_fmas_f32 v20, v20, v21, v23
	v_div_fixup_f32 v19, v20, v19, 1.0
.LBB14_13:
	s_or_b64 exec, exec, s[0:1]
	v_cmp_o_f16_e32 vcc, v15, v15
	s_and_saveexec_b64 s[0:1], vcc
	s_cbranch_execz .LBB14_15
; %bb.14:
	v_cvt_f32_f16_e64 v14, -v15
	s_mov_b32 s2, 0x3fb8aa3b
	s_mov_b32 s3, 0x32a5705f
	v_mul_f32_e32 v20, 0x3fb8aa3b, v14
	v_rndne_f32_e32 v21, v20
	v_fma_mix_f32 v22, -v15, s2, -v20 op_sel_hi:[1,0,0]
	v_sub_f32_e32 v20, v20, v21
	v_fma_mix_f32 v22, -v15, s3, v22 op_sel_hi:[1,0,0]
	v_add_f32_e32 v20, v20, v22
	v_cvt_i32_f32_e32 v21, v21
	v_exp_f32_e32 v20, v20
	s_mov_b32 s2, 0xc2ce8ed0
	v_cmp_ngt_f32_e32 vcc, s2, v14
	s_mov_b32 s2, 0x42b17218
	v_ldexp_f32 v20, v20, v21
	v_cndmask_b32_e32 v20, 0, v20, vcc
	v_mov_b32_e32 v21, 0x7f800000
	v_cmp_nlt_f32_e32 vcc, s2, v14
	v_cndmask_b32_e32 v14, v21, v20, vcc
	v_add_f32_e32 v14, 1.0, v14
	v_div_scale_f32 v20, s[2:3], v14, v14, 1.0
	v_rcp_f32_e32 v21, v20
	v_fma_f32 v22, -v20, v21, 1.0
	v_fmac_f32_e32 v21, v22, v21
	v_div_scale_f32 v22, vcc, 1.0, v14, 1.0
	v_mul_f32_e32 v23, v22, v21
	v_fma_f32 v24, -v20, v23, v22
	v_fmac_f32_e32 v23, v24, v21
	v_fma_f32 v20, -v20, v23, v22
	v_div_fmas_f32 v20, v20, v21, v23
	v_div_fixup_f32 v14, v20, v14, 1.0
.LBB14_15:
	s_or_b64 exec, exec, s[0:1]
	v_lshrrev_b32_e32 v21, 16, v15
	v_cmp_o_f16_e32 vcc, v21, v21
	v_mov_b32_e32 v20, 0
	v_mov_b32_e32 v15, 0
	s_and_saveexec_b64 s[0:1], vcc
	s_cbranch_execz .LBB14_17
; %bb.16:
	v_cvt_f32_f16_e64 v15, -v21
	s_mov_b32 s2, 0x3fb8aa3b
	s_mov_b32 s3, 0x32a5705f
	v_mul_f32_e32 v22, 0x3fb8aa3b, v15
	v_rndne_f32_e32 v23, v22
	v_fma_mix_f32 v24, -v21, s2, -v22 op_sel_hi:[1,0,0]
	v_sub_f32_e32 v22, v22, v23
	v_fma_mix_f32 v21, -v21, s3, v24 op_sel_hi:[1,0,0]
	v_add_f32_e32 v21, v22, v21
	v_cvt_i32_f32_e32 v22, v23
	v_exp_f32_e32 v21, v21
	s_mov_b32 s2, 0xc2ce8ed0
	v_cmp_ngt_f32_e32 vcc, s2, v15
	s_mov_b32 s2, 0x42b17218
	v_ldexp_f32 v21, v21, v22
	v_cndmask_b32_e32 v21, 0, v21, vcc
	v_mov_b32_e32 v22, 0x7f800000
	v_cmp_nlt_f32_e32 vcc, s2, v15
	v_cndmask_b32_e32 v15, v22, v21, vcc
	v_add_f32_e32 v15, 1.0, v15
	v_div_scale_f32 v21, s[2:3], v15, v15, 1.0
	v_rcp_f32_e32 v22, v21
	v_fma_f32 v23, -v21, v22, 1.0
	v_fmac_f32_e32 v22, v23, v22
	v_div_scale_f32 v23, vcc, 1.0, v15, 1.0
	v_mul_f32_e32 v24, v23, v22
	v_fma_f32 v25, -v21, v24, v23
	v_fmac_f32_e32 v24, v25, v22
	v_fma_f32 v21, -v21, v24, v23
	v_div_fmas_f32 v21, v21, v22, v24
	v_div_fixup_f32 v15, v21, v15, 1.0
.LBB14_17:
	s_or_b64 exec, exec, s[0:1]
	v_cmp_o_f16_e32 vcc, v8, v8
	s_and_saveexec_b64 s[0:1], vcc
	s_cbranch_execz .LBB14_19
; %bb.18:
	v_cvt_f32_f16_e64 v20, -v8
	s_mov_b32 s2, 0x3fb8aa3b
	s_mov_b32 s3, 0x32a5705f
	v_mul_f32_e32 v21, 0x3fb8aa3b, v20
	v_rndne_f32_e32 v22, v21
	v_fma_mix_f32 v23, -v8, s2, -v21 op_sel_hi:[1,0,0]
	v_sub_f32_e32 v21, v21, v22
	v_fma_mix_f32 v23, -v8, s3, v23 op_sel_hi:[1,0,0]
	v_add_f32_e32 v21, v21, v23
	v_cvt_i32_f32_e32 v22, v22
	v_exp_f32_e32 v21, v21
	s_mov_b32 s2, 0xc2ce8ed0
	v_cmp_ngt_f32_e32 vcc, s2, v20
	s_mov_b32 s2, 0x42b17218
	v_ldexp_f32 v21, v21, v22
	v_cndmask_b32_e32 v21, 0, v21, vcc
	v_mov_b32_e32 v22, 0x7f800000
	v_cmp_nlt_f32_e32 vcc, s2, v20
	v_cndmask_b32_e32 v20, v22, v21, vcc
	v_add_f32_e32 v20, 1.0, v20
	v_div_scale_f32 v21, s[2:3], v20, v20, 1.0
	v_rcp_f32_e32 v22, v21
	v_fma_f32 v23, -v21, v22, 1.0
	v_fmac_f32_e32 v22, v23, v22
	v_div_scale_f32 v23, vcc, 1.0, v20, 1.0
	v_mul_f32_e32 v24, v23, v22
	v_fma_f32 v25, -v21, v24, v23
	v_fmac_f32_e32 v24, v25, v22
	v_fma_f32 v21, -v21, v24, v23
	v_div_fmas_f32 v21, v21, v22, v24
	v_div_fixup_f32 v20, v21, v20, 1.0
.LBB14_19:
	s_or_b64 exec, exec, s[0:1]
	v_lshrrev_b32_e32 v22, 16, v8
	v_cmp_o_f16_e32 vcc, v22, v22
	v_mov_b32_e32 v8, 0
	v_mov_b32_e32 v21, 0
	s_and_saveexec_b64 s[0:1], vcc
	s_cbranch_execz .LBB14_21
; %bb.20:
	v_cvt_f32_f16_e64 v21, -v22
	s_mov_b32 s2, 0x3fb8aa3b
	s_mov_b32 s3, 0x32a5705f
	v_mul_f32_e32 v23, 0x3fb8aa3b, v21
	v_rndne_f32_e32 v24, v23
	v_fma_mix_f32 v25, -v22, s2, -v23 op_sel_hi:[1,0,0]
	v_sub_f32_e32 v23, v23, v24
	v_fma_mix_f32 v22, -v22, s3, v25 op_sel_hi:[1,0,0]
	v_add_f32_e32 v22, v23, v22
	v_cvt_i32_f32_e32 v23, v24
	v_exp_f32_e32 v22, v22
	s_mov_b32 s2, 0xc2ce8ed0
	v_cmp_ngt_f32_e32 vcc, s2, v21
	s_mov_b32 s2, 0x42b17218
	v_ldexp_f32 v22, v22, v23
	v_cndmask_b32_e32 v22, 0, v22, vcc
	v_mov_b32_e32 v23, 0x7f800000
	v_cmp_nlt_f32_e32 vcc, s2, v21
	v_cndmask_b32_e32 v21, v23, v22, vcc
	v_add_f32_e32 v21, 1.0, v21
	v_div_scale_f32 v22, s[2:3], v21, v21, 1.0
	v_rcp_f32_e32 v23, v22
	v_fma_f32 v24, -v22, v23, 1.0
	v_fmac_f32_e32 v23, v24, v23
	v_div_scale_f32 v24, vcc, 1.0, v21, 1.0
	v_mul_f32_e32 v25, v24, v23
	v_fma_f32 v26, -v22, v25, v24
	v_fmac_f32_e32 v25, v26, v23
	v_fma_f32 v22, -v22, v25, v24
	v_div_fmas_f32 v22, v22, v23, v25
	v_div_fixup_f32 v21, v22, v21, 1.0
.LBB14_21:
	s_or_b64 exec, exec, s[0:1]
	v_cmp_o_f16_e32 vcc, v9, v9
	s_and_saveexec_b64 s[0:1], vcc
	s_cbranch_execz .LBB14_23
; %bb.22:
	v_cvt_f32_f16_e64 v8, -v9
	s_mov_b32 s2, 0x3fb8aa3b
	s_mov_b32 s3, 0x32a5705f
	v_mul_f32_e32 v22, 0x3fb8aa3b, v8
	v_rndne_f32_e32 v23, v22
	v_fma_mix_f32 v24, -v9, s2, -v22 op_sel_hi:[1,0,0]
	v_sub_f32_e32 v22, v22, v23
	v_fma_mix_f32 v24, -v9, s3, v24 op_sel_hi:[1,0,0]
	v_add_f32_e32 v22, v22, v24
	v_cvt_i32_f32_e32 v23, v23
	v_exp_f32_e32 v22, v22
	s_mov_b32 s2, 0xc2ce8ed0
	v_cmp_ngt_f32_e32 vcc, s2, v8
	s_mov_b32 s2, 0x42b17218
	v_ldexp_f32 v22, v22, v23
	v_cndmask_b32_e32 v22, 0, v22, vcc
	v_mov_b32_e32 v23, 0x7f800000
	v_cmp_nlt_f32_e32 vcc, s2, v8
	v_cndmask_b32_e32 v8, v23, v22, vcc
	v_add_f32_e32 v8, 1.0, v8
	v_div_scale_f32 v22, s[2:3], v8, v8, 1.0
	v_rcp_f32_e32 v23, v22
	v_fma_f32 v24, -v22, v23, 1.0
	v_fmac_f32_e32 v23, v24, v23
	v_div_scale_f32 v24, vcc, 1.0, v8, 1.0
	v_mul_f32_e32 v25, v24, v23
	v_fma_f32 v26, -v22, v25, v24
	v_fmac_f32_e32 v25, v26, v23
	v_fma_f32 v22, -v22, v25, v24
	v_div_fmas_f32 v22, v22, v23, v25
	v_div_fixup_f32 v8, v22, v8, 1.0
.LBB14_23:
	s_or_b64 exec, exec, s[0:1]
	v_lshrrev_b32_e32 v23, 16, v9
	v_cmp_o_f16_e32 vcc, v23, v23
	v_mov_b32_e32 v22, 0
	v_mov_b32_e32 v9, 0
	s_and_saveexec_b64 s[0:1], vcc
	s_cbranch_execz .LBB14_25
; %bb.24:
	v_cvt_f32_f16_e64 v9, -v23
	s_mov_b32 s2, 0x3fb8aa3b
	s_mov_b32 s3, 0x32a5705f
	v_mul_f32_e32 v24, 0x3fb8aa3b, v9
	v_rndne_f32_e32 v25, v24
	v_fma_mix_f32 v26, -v23, s2, -v24 op_sel_hi:[1,0,0]
	v_sub_f32_e32 v24, v24, v25
	v_fma_mix_f32 v23, -v23, s3, v26 op_sel_hi:[1,0,0]
	v_add_f32_e32 v23, v24, v23
	v_cvt_i32_f32_e32 v24, v25
	v_exp_f32_e32 v23, v23
	s_mov_b32 s2, 0xc2ce8ed0
	v_cmp_ngt_f32_e32 vcc, s2, v9
	s_mov_b32 s2, 0x42b17218
	v_ldexp_f32 v23, v23, v24
	v_cndmask_b32_e32 v23, 0, v23, vcc
	v_mov_b32_e32 v24, 0x7f800000
	v_cmp_nlt_f32_e32 vcc, s2, v9
	v_cndmask_b32_e32 v9, v24, v23, vcc
	v_add_f32_e32 v9, 1.0, v9
	v_div_scale_f32 v23, s[2:3], v9, v9, 1.0
	v_rcp_f32_e32 v24, v23
	v_fma_f32 v25, -v23, v24, 1.0
	v_fmac_f32_e32 v24, v25, v24
	v_div_scale_f32 v25, vcc, 1.0, v9, 1.0
	v_mul_f32_e32 v26, v25, v24
	v_fma_f32 v27, -v23, v26, v25
	v_fmac_f32_e32 v26, v27, v24
	v_fma_f32 v23, -v23, v26, v25
	v_div_fmas_f32 v23, v23, v24, v26
	v_div_fixup_f32 v9, v23, v9, 1.0
.LBB14_25:
	s_or_b64 exec, exec, s[0:1]
	v_cmp_o_f16_e32 vcc, v10, v10
	s_and_saveexec_b64 s[0:1], vcc
	s_cbranch_execz .LBB14_27
; %bb.26:
	v_cvt_f32_f16_e64 v22, -v10
	s_mov_b32 s2, 0x3fb8aa3b
	s_mov_b32 s3, 0x32a5705f
	v_mul_f32_e32 v23, 0x3fb8aa3b, v22
	v_rndne_f32_e32 v24, v23
	v_fma_mix_f32 v25, -v10, s2, -v23 op_sel_hi:[1,0,0]
	v_sub_f32_e32 v23, v23, v24
	v_fma_mix_f32 v25, -v10, s3, v25 op_sel_hi:[1,0,0]
	v_add_f32_e32 v23, v23, v25
	v_cvt_i32_f32_e32 v24, v24
	v_exp_f32_e32 v23, v23
	s_mov_b32 s2, 0xc2ce8ed0
	v_cmp_ngt_f32_e32 vcc, s2, v22
	s_mov_b32 s2, 0x42b17218
	v_ldexp_f32 v23, v23, v24
	v_cndmask_b32_e32 v23, 0, v23, vcc
	v_mov_b32_e32 v24, 0x7f800000
	v_cmp_nlt_f32_e32 vcc, s2, v22
	v_cndmask_b32_e32 v22, v24, v23, vcc
	v_add_f32_e32 v22, 1.0, v22
	v_div_scale_f32 v23, s[2:3], v22, v22, 1.0
	v_rcp_f32_e32 v24, v23
	v_fma_f32 v25, -v23, v24, 1.0
	v_fmac_f32_e32 v24, v25, v24
	v_div_scale_f32 v25, vcc, 1.0, v22, 1.0
	v_mul_f32_e32 v26, v25, v24
	v_fma_f32 v27, -v23, v26, v25
	v_fmac_f32_e32 v26, v27, v24
	v_fma_f32 v23, -v23, v26, v25
	v_div_fmas_f32 v23, v23, v24, v26
	v_div_fixup_f32 v22, v23, v22, 1.0
.LBB14_27:
	s_or_b64 exec, exec, s[0:1]
	v_lshrrev_b32_e32 v24, 16, v10
	v_cmp_o_f16_e32 vcc, v24, v24
	v_mov_b32_e32 v10, 0
	v_mov_b32_e32 v23, 0
	s_and_saveexec_b64 s[0:1], vcc
	s_cbranch_execz .LBB14_29
; %bb.28:
	v_cvt_f32_f16_e64 v23, -v24
	s_mov_b32 s2, 0x3fb8aa3b
	s_mov_b32 s3, 0x32a5705f
	v_mul_f32_e32 v25, 0x3fb8aa3b, v23
	v_rndne_f32_e32 v26, v25
	v_fma_mix_f32 v27, -v24, s2, -v25 op_sel_hi:[1,0,0]
	v_sub_f32_e32 v25, v25, v26
	v_fma_mix_f32 v24, -v24, s3, v27 op_sel_hi:[1,0,0]
	v_add_f32_e32 v24, v25, v24
	v_cvt_i32_f32_e32 v25, v26
	v_exp_f32_e32 v24, v24
	s_mov_b32 s2, 0xc2ce8ed0
	v_cmp_ngt_f32_e32 vcc, s2, v23
	s_mov_b32 s2, 0x42b17218
	v_ldexp_f32 v24, v24, v25
	v_cndmask_b32_e32 v24, 0, v24, vcc
	v_mov_b32_e32 v25, 0x7f800000
	v_cmp_nlt_f32_e32 vcc, s2, v23
	v_cndmask_b32_e32 v23, v25, v24, vcc
	v_add_f32_e32 v23, 1.0, v23
	v_div_scale_f32 v24, s[2:3], v23, v23, 1.0
	v_rcp_f32_e32 v25, v24
	v_fma_f32 v26, -v24, v25, 1.0
	v_fmac_f32_e32 v25, v26, v25
	v_div_scale_f32 v26, vcc, 1.0, v23, 1.0
	v_mul_f32_e32 v27, v26, v25
	v_fma_f32 v28, -v24, v27, v26
	v_fmac_f32_e32 v27, v28, v25
	v_fma_f32 v24, -v24, v27, v26
	v_div_fmas_f32 v24, v24, v25, v27
	v_div_fixup_f32 v23, v24, v23, 1.0
.LBB14_29:
	s_or_b64 exec, exec, s[0:1]
	v_cmp_o_f16_e32 vcc, v11, v11
	s_and_saveexec_b64 s[0:1], vcc
	s_cbranch_execz .LBB14_31
; %bb.30:
	v_cvt_f32_f16_e64 v10, -v11
	s_mov_b32 s2, 0x3fb8aa3b
	s_mov_b32 s3, 0x32a5705f
	v_mul_f32_e32 v24, 0x3fb8aa3b, v10
	v_rndne_f32_e32 v25, v24
	v_fma_mix_f32 v26, -v11, s2, -v24 op_sel_hi:[1,0,0]
	v_sub_f32_e32 v24, v24, v25
	v_fma_mix_f32 v26, -v11, s3, v26 op_sel_hi:[1,0,0]
	v_add_f32_e32 v24, v24, v26
	v_cvt_i32_f32_e32 v25, v25
	v_exp_f32_e32 v24, v24
	s_mov_b32 s2, 0xc2ce8ed0
	v_cmp_ngt_f32_e32 vcc, s2, v10
	s_mov_b32 s2, 0x42b17218
	v_ldexp_f32 v24, v24, v25
	v_cndmask_b32_e32 v24, 0, v24, vcc
	v_mov_b32_e32 v25, 0x7f800000
	v_cmp_nlt_f32_e32 vcc, s2, v10
	v_cndmask_b32_e32 v10, v25, v24, vcc
	v_add_f32_e32 v10, 1.0, v10
	v_div_scale_f32 v24, s[2:3], v10, v10, 1.0
	v_rcp_f32_e32 v25, v24
	v_fma_f32 v26, -v24, v25, 1.0
	v_fmac_f32_e32 v25, v26, v25
	v_div_scale_f32 v26, vcc, 1.0, v10, 1.0
	v_mul_f32_e32 v27, v26, v25
	v_fma_f32 v28, -v24, v27, v26
	v_fmac_f32_e32 v27, v28, v25
	v_fma_f32 v24, -v24, v27, v26
	v_div_fmas_f32 v24, v24, v25, v27
	v_div_fixup_f32 v10, v24, v10, 1.0
.LBB14_31:
	s_or_b64 exec, exec, s[0:1]
	v_lshrrev_b32_e32 v24, 16, v11
	v_cmp_o_f16_e32 vcc, v24, v24
	v_mov_b32_e32 v11, 0
	s_and_saveexec_b64 s[0:1], vcc
	s_cbranch_execz .LBB14_33
; %bb.32:
	v_cvt_f32_f16_e64 v11, -v24
	s_mov_b32 s2, 0x3fb8aa3b
	s_mov_b32 s3, 0x32a5705f
	v_mul_f32_e32 v25, 0x3fb8aa3b, v11
	v_rndne_f32_e32 v26, v25
	v_fma_mix_f32 v27, -v24, s2, -v25 op_sel_hi:[1,0,0]
	v_sub_f32_e32 v25, v25, v26
	v_fma_mix_f32 v24, -v24, s3, v27 op_sel_hi:[1,0,0]
	v_add_f32_e32 v24, v25, v24
	v_cvt_i32_f32_e32 v25, v26
	v_exp_f32_e32 v24, v24
	s_mov_b32 s2, 0xc2ce8ed0
	v_cmp_ngt_f32_e32 vcc, s2, v11
	s_mov_b32 s2, 0x42b17218
	v_ldexp_f32 v24, v24, v25
	v_cndmask_b32_e32 v24, 0, v24, vcc
	v_mov_b32_e32 v25, 0x7f800000
	v_cmp_nlt_f32_e32 vcc, s2, v11
	v_cndmask_b32_e32 v11, v25, v24, vcc
	v_add_f32_e32 v11, 1.0, v11
	v_div_scale_f32 v24, s[2:3], v11, v11, 1.0
	v_rcp_f32_e32 v25, v24
	v_fma_f32 v26, -v24, v25, 1.0
	v_fmac_f32_e32 v25, v26, v25
	v_div_scale_f32 v26, vcc, 1.0, v11, 1.0
	v_mul_f32_e32 v27, v26, v25
	v_fma_f32 v28, -v24, v27, v26
	v_fmac_f32_e32 v27, v28, v25
	v_fma_f32 v24, -v24, v27, v26
	v_div_fmas_f32 v24, v24, v25, v27
	v_div_fixup_f32 v11, v24, v11, 1.0
.LBB14_33:
	s_or_b64 exec, exec, s[0:1]
	s_waitcnt vmcnt(0)
	v_cvt_f32_f16_e32 v24, v4
	v_cvt_f32_f16_sdwa v4, v4 dst_sel:DWORD dst_unused:UNUSED_PAD src0_sel:WORD_1
	s_mov_b32 s2, 0xff7fffff
	v_add_f32_e32 v39, v37, v24
	v_add_f32_e32 v40, v38, v4
	v_max_f32_e32 v4, 0xff7fffff, v39
	v_cmp_ngt_f32_e32 vcc, v40, v4
	v_mov_b32_e32 v24, v4
	v_mov_b32_e32 v25, v40
	s_and_saveexec_b64 s[0:1], vcc
	s_cbranch_execz .LBB14_37
; %bb.34:
	v_cmp_lt_f32_e32 vcc, s2, v40
	v_mov_b32_e32 v24, 0xff7fffff
	s_and_saveexec_b64 s[2:3], vcc
; %bb.35:
	v_mov_b32_e32 v24, v40
; %bb.36:
	s_or_b64 exec, exec, s[2:3]
	v_mov_b32_e32 v25, v4
.LBB14_37:
	s_or_b64 exec, exec, s[0:1]
	v_cvt_f32_f16_sdwa v27, v5 dst_sel:DWORD dst_unused:UNUSED_PAD src0_sel:WORD_1
	v_cvt_f32_f16_e32 v26, v5
	v_mov_b32_e32 v28, v25
	v_pk_add_f32 v[4:5], v[12:13], v[26:27]
	v_cmp_ngt_f32_e32 vcc, v4, v25
	v_mov_b32_e32 v29, v4
	s_and_saveexec_b64 s[0:1], vcc
	s_cbranch_execz .LBB14_41
; %bb.38:
	v_cmp_gt_f32_e32 vcc, v4, v24
	s_and_saveexec_b64 s[2:3], vcc
; %bb.39:
	v_mov_b32_e32 v24, v4
; %bb.40:
	s_or_b64 exec, exec, s[2:3]
	v_mov_b32_e32 v28, v24
	v_mov_b32_e32 v29, v25
.LBB14_41:
	s_or_b64 exec, exec, s[0:1]
	v_cmp_ngt_f32_e32 vcc, v5, v29
	v_mov_b32_e32 v27, v29
	v_mov_b32_e32 v26, v5
	s_and_saveexec_b64 s[0:1], vcc
	s_cbranch_execz .LBB14_45
; %bb.42:
	v_cmp_gt_f32_e32 vcc, v5, v28
	s_and_saveexec_b64 s[2:3], vcc
; %bb.43:
	v_mov_b32_e32 v28, v5
; %bb.44:
	s_or_b64 exec, exec, s[2:3]
	v_mov_b32_e32 v27, v28
	v_mov_b32_e32 v26, v29
.LBB14_45:
	s_or_b64 exec, exec, s[0:1]
	v_cvt_f32_f16_sdwa v25, v6 dst_sel:DWORD dst_unused:UNUSED_PAD src0_sel:WORD_1
	v_cvt_f32_f16_e32 v24, v6
	v_mov_b32_e32 v29, v26
	v_pk_add_f32 v[24:25], v[18:19], v[24:25]
	v_cmp_ngt_f32_e32 vcc, v24, v26
	v_mov_b32_e32 v30, v24
	s_and_saveexec_b64 s[0:1], vcc
	s_cbranch_execz .LBB14_49
; %bb.46:
	v_cmp_gt_f32_e32 vcc, v24, v27
	s_and_saveexec_b64 s[2:3], vcc
; %bb.47:
	v_mov_b32_e32 v27, v24
; %bb.48:
	s_or_b64 exec, exec, s[2:3]
	v_mov_b32_e32 v29, v27
	v_mov_b32_e32 v30, v26
.LBB14_49:
	s_or_b64 exec, exec, s[0:1]
	v_cmp_ngt_f32_e32 vcc, v25, v30
	v_mov_b32_e32 v28, v30
	v_mov_b32_e32 v6, v25
	s_and_saveexec_b64 s[0:1], vcc
	s_cbranch_execz .LBB14_53
; %bb.50:
	v_cmp_gt_f32_e32 vcc, v25, v29
	s_and_saveexec_b64 s[2:3], vcc
; %bb.51:
	v_mov_b32_e32 v29, v25
; %bb.52:
	s_or_b64 exec, exec, s[2:3]
	v_mov_b32_e32 v28, v29
	v_mov_b32_e32 v6, v30
.LBB14_53:
	;; [unrolled: 35-line block ×7, first 2 shown]
	s_or_b64 exec, exec, s[0:1]
	v_cmp_lt_i64_e64 s[0:1], s[46:47], 8
	v_lshlrev_b32_e32 v42, 4, v36
	s_and_b64 vcc, exec, s[0:1]
	s_cbranch_vccz .LBB14_96
; %bb.94:
	s_sub_u32 s6, 8, s46
	s_subb_u32 s7, 0, s47
	v_add_f32_e32 v6, v6, v7
	s_mov_b64 s[8:9], 0
	v_mov_b32_e32 v7, 0x7f7fffff
.LBB14_95:                              ; =>This Inner Loop Header: Depth=1
	v_mov_b32_dpp v33, v42 quad_perm:[1,0,3,2] row_mask:0xf bank_mask:0xf
	v_mov_b32_dpp v34, v6 quad_perm:[1,0,3,2] row_mask:0xf bank_mask:0xf
	v_cmp_eq_f32_e64 s[0:1], v6, v34
	v_cmp_lt_i32_e64 s[2:3], v42, v33
	v_cmp_lt_f32_e32 vcc, v6, v34
	s_and_b64 s[0:1], s[2:3], s[0:1]
	s_or_b64 vcc, vcc, s[0:1]
	v_cndmask_b32_e32 v34, v34, v6, vcc
	v_cndmask_b32_e32 v33, v33, v42, vcc
	s_nop 0
	v_mov_b32_dpp v41, v34 quad_perm:[2,3,0,1] row_mask:0xf bank_mask:0xf
	v_mov_b32_dpp v35, v33 quad_perm:[2,3,0,1] row_mask:0xf bank_mask:0xf
	v_cmp_eq_f32_e32 vcc, v34, v41
	v_cmp_lt_i32_e64 s[0:1], v33, v35
	s_and_b64 vcc, vcc, s[0:1]
	v_cmp_lt_f32_e64 s[0:1], v34, v41
	v_cndmask_b32_e32 v43, v41, v34, vcc
	s_or_b64 vcc, s[0:1], vcc
	v_cndmask_b32_e64 v34, v43, v34, s[0:1]
	v_cndmask_b32_e32 v33, v35, v33, vcc
	s_add_u32 s8, s8, 1
	v_mov_b32_dpp v41, v34 row_half_mirror row_mask:0xf bank_mask:0xf
	v_mov_b32_dpp v35, v33 row_half_mirror row_mask:0xf bank_mask:0xf
	v_min_i32_e32 v43, v33, v35
	v_cmp_eq_f32_e32 vcc, v34, v41
	v_cndmask_b32_e32 v35, v35, v43, vcc
	v_cmp_lt_f32_e32 vcc, v34, v41
	v_cndmask_b32_e32 v33, v35, v33, vcc
	v_ashrrev_i32_e32 v34, 31, v33
	v_lshrrev_b32_e32 v34, 28, v34
	v_add_u32_e32 v33, v33, v34
	v_ashrrev_i32_e32 v33, 4, v33
	s_addc_u32 s9, s9, 0
	v_cmp_eq_u32_e32 vcc, v36, v33
	v_pk_mov_b32 v[34:35], s[8:9], s[8:9] op_sel:[0,1]
	v_cndmask_b32_e32 v39, v39, v7, vcc
	v_cndmask_b32_e32 v6, v6, v7, vcc
	v_cmp_le_i64_e32 vcc, s[6:7], v[34:35]
	s_cbranch_vccz .LBB14_95
.LBB14_96:
	s_sub_u32 s36, s48, s50
	s_subb_u32 s37, s49, s51
	s_mov_b64 s[0:1], src_shared_base
	s_cmp_lg_u32 0, -1
	s_cselect_b32 s0, s1, 0
	s_cselect_b32 s1, 0, 0
	s_add_u32 s1, s1, 0xff
	s_addc_u32 s0, s0, 0
	s_and_b32 s1, s1, 0xffffff00
	v_mov_b32_e32 v6, s1
	v_mov_b32_e32 v7, s0
	v_lshlrev_b32_e32 v33, 2, v32
	v_mad_u64_u32 v[6:7], s[0:1], v33, s48, v[6:7]
	s_load_dword s33, s[4:5], 0x48
	v_mov_b32_e32 v32, v7
	v_mad_u64_u32 v[32:33], s[0:1], v33, s49, v[32:33]
	v_cmp_lt_i64_e64 s[0:1], s[36:37], 1
	v_mov_b32_e32 v7, v32
	s_and_b64 vcc, exec, s[0:1]
	v_cmp_eq_u32_e64 s[0:1], 0, v36
	s_cbranch_vccnz .LBB14_107
; %bb.97:
	s_waitcnt lgkmcnt(0)
	v_mad_u64_u32 v[32:33], s[2:3], s33, v16, 0
	s_ashr_i32 s6, s33, 31
	v_mov_b32_e32 v34, v33
	v_mad_u64_u32 v[34:35], s[2:3], s6, v16, v[34:35]
	v_mov_b32_e32 v33, v34
	v_lshlrev_b64 v[32:33], 2, v[32:33]
	v_mov_b32_e32 v34, s43
	v_add_co_u32_e32 v32, vcc, s42, v32
	v_addc_co_u32_e32 v33, vcc, v34, v33, vcc
	v_mul_u32_u24_e32 v43, 16, v36
	s_mov_b64 s[38:39], 0
	v_mov_b32_e32 v41, 0
	s_mov_b32 s52, 0x7f7fffff
	v_mov_b32_e32 v44, 0xff7fffff
	v_pk_mov_b32 v[34:35], v[6:7], v[6:7] op_sel:[0,1]
	s_branch .LBB14_99
.LBB14_98:                              ;   in Loop: Header=BB14_99 Depth=1
	s_or_b64 exec, exec, s[2:3]
	v_add_co_u32_e32 v32, vcc, 4, v32
	s_add_u32 s38, s38, 1
	v_addc_co_u32_e32 v33, vcc, 0, v33, vcc
	s_addc_u32 s39, s39, 0
	v_add_co_u32_e32 v34, vcc, 4, v34
	v_addc_co_u32_e32 v35, vcc, 0, v35, vcc
	v_pk_mov_b32 v[46:47], s[38:39], s[38:39] op_sel:[0,1]
	v_cmp_le_i64_e32 vcc, s[36:37], v[46:47]
	s_cbranch_vccnz .LBB14_108
.LBB14_99:                              ; =>This Inner Loop Header: Depth=1
	v_cmp_neq_f32_e32 vcc, s52, v39
	v_mov_b32_e32 v45, 0xff7fffff
	v_mov_b32_e32 v46, v42
	s_and_saveexec_b64 s[2:3], vcc
	s_cbranch_execz .LBB14_101
; %bb.100:                              ;   in Loop: Header=BB14_99 Depth=1
	v_cmp_gt_f32_e32 vcc, v40, v39
	v_cndmask_b32_e32 v45, v39, v40, vcc
	v_cndmask_b32_e64 v46, 0, 1, vcc
	v_cmp_gt_f32_e32 vcc, v4, v45
	v_cndmask_b32_e32 v45, v45, v4, vcc
	v_cndmask_b32_e64 v46, v46, 2, vcc
	;; [unrolled: 3-line block ×14, first 2 shown]
	v_cmp_gt_f32_e32 vcc, v3, v45
	v_cndmask_b32_e64 v46, v46, 15, vcc
	v_cndmask_b32_e32 v45, v45, v3, vcc
	v_or_b32_e32 v46, v46, v42
.LBB14_101:                             ;   in Loop: Header=BB14_99 Depth=1
	s_or_b64 exec, exec, s[2:3]
	s_nop 0
	v_mov_b32_dpp v47, v46 quad_perm:[1,0,3,2] row_mask:0xf bank_mask:0xf
	v_mov_b32_dpp v48, v45 quad_perm:[1,0,3,2] row_mask:0xf bank_mask:0xf
	v_cmp_eq_f32_e64 s[2:3], v45, v48
	v_cmp_lt_i32_e64 s[6:7], v46, v47
	v_cmp_gt_f32_e32 vcc, v45, v48
	s_and_b64 s[2:3], s[2:3], s[6:7]
	s_or_b64 vcc, vcc, s[2:3]
	v_cndmask_b32_e32 v45, v48, v45, vcc
	v_cndmask_b32_e32 v46, v47, v46, vcc
	s_nop 0
	v_mov_b32_dpp v48, v45 quad_perm:[2,3,0,1] row_mask:0xf bank_mask:0xf
	v_mov_b32_dpp v47, v46 quad_perm:[2,3,0,1] row_mask:0xf bank_mask:0xf
	v_cmp_eq_f32_e32 vcc, v45, v48
	v_cmp_lt_i32_e64 s[2:3], v46, v47
	s_and_b64 vcc, vcc, s[2:3]
	v_cmp_gt_f32_e64 s[2:3], v45, v48
	v_cndmask_b32_e32 v49, v48, v45, vcc
	s_or_b64 vcc, s[2:3], vcc
	v_cndmask_b32_e64 v45, v49, v45, s[2:3]
	v_cndmask_b32_e32 v46, v47, v46, vcc
	s_nop 0
	v_mov_b32_dpp v48, v45 row_half_mirror row_mask:0xf bank_mask:0xf
	v_mov_b32_dpp v47, v46 row_half_mirror row_mask:0xf bank_mask:0xf
	v_min_i32_e32 v49, v46, v47
	v_cmp_eq_f32_e32 vcc, v45, v48
	v_cndmask_b32_e32 v47, v47, v49, vcc
	v_cmp_gt_f32_e32 vcc, v45, v48
	v_cndmask_b32_e32 v45, v47, v46, vcc
	v_ashrrev_i32_e32 v46, 31, v45
	v_lshrrev_b32_e32 v46, 28, v46
	v_add_u32_e32 v46, v45, v46
	v_ashrrev_i32_e32 v46, 4, v46
	v_cmp_eq_u32_e32 vcc, v36, v46
	s_and_saveexec_b64 s[44:45], vcc
	s_cbranch_execz .LBB14_105
; %bb.102:                              ;   in Loop: Header=BB14_99 Depth=1
	v_sub_u32_e32 v46, v45, v43
	v_cmp_eq_u32_e64 s[26:27], 1, v46
	v_cmp_eq_u32_e64 s[28:29], 3, v46
	;; [unrolled: 1-line block ×13, first 2 shown]
	v_cmp_eq_u32_e32 vcc, 15, v46
	v_cmp_eq_u32_e64 s[2:3], 14, v46
	v_cmp_gt_u32_e64 s[34:35], 16, v46
	s_and_saveexec_b64 s[46:47], s[34:35]
	s_cbranch_execz .LBB14_104
; %bb.103:                              ;   in Loop: Header=BB14_99 Depth=1
	v_cndmask_b32_e64 v47, v37, v38, s[26:27]
	v_cndmask_b32_e64 v47, v47, v12, s[30:31]
	;; [unrolled: 1-line block ×14, first 2 shown]
	v_cndmask_b32_e32 v47, v47, v11, vcc
	flat_store_dword v[34:35], v47
.LBB14_104:                             ;   in Loop: Header=BB14_99 Depth=1
	s_or_b64 exec, exec, s[46:47]
	v_cmp_ne_u32_e64 s[34:35], 0, v46
	v_cndmask_b32_e64 v39, v44, v39, s[34:35]
	v_cndmask_b32_e64 v40, v40, v44, s[26:27]
	;; [unrolled: 1-line block ×14, first 2 shown]
	v_cndmask_b32_e32 v3, v3, v44, vcc
	v_cndmask_b32_e64 v2, v2, v44, s[2:3]
	global_store_dword v[32:33], v45, off
.LBB14_105:                             ;   in Loop: Header=BB14_99 Depth=1
	s_or_b64 exec, exec, s[44:45]
	s_waitcnt lgkmcnt(0)
	s_barrier
	s_and_saveexec_b64 s[2:3], s[0:1]
	s_cbranch_execz .LBB14_98
; %bb.106:                              ;   in Loop: Header=BB14_99 Depth=1
	flat_load_dword v45, v[34:35]
	s_waitcnt vmcnt(0) lgkmcnt(0)
	v_add_f32_e32 v41, v41, v45
	s_branch .LBB14_98
.LBB14_107:
	v_mov_b32_e32 v41, 0
.LBB14_108:
	v_cmp_eq_u32_e64 s[0:1], 0, v36
	v_cmp_gt_i64_e64 s[2:3], s[50:51], 0
	s_and_b64 s[6:7], s[0:1], s[2:3]
	s_and_saveexec_b64 s[2:3], s[6:7]
	s_cbranch_execz .LBB14_121
; %bb.109:
	v_cmp_le_u64_e32 vcc, s[50:51], v[16:17]
	v_pk_mov_b32 v[0:1], v[16:17], v[16:17] op_sel:[0,1]
	s_and_saveexec_b64 s[6:7], vcc
	s_cbranch_execz .LBB14_111
; %bb.110:
	v_cvt_f32_u32_e32 v0, s50
	s_sub_i32 s8, 0, s50
	v_rcp_iflag_f32_e32 v0, v0
	v_mul_f32_e32 v0, 0x4f7ffffe, v0
	v_cvt_u32_f32_e32 v0, v0
	v_mul_lo_u32 v1, s8, v0
	v_mul_hi_u32 v1, v0, v1
	v_add_u32_e32 v0, v0, v1
	v_mul_hi_u32 v0, v16, v0
	v_mul_lo_u32 v0, v0, s50
	v_sub_u32_e32 v0, v16, v0
	v_subrev_u32_e32 v1, s50, v0
	v_cmp_le_u32_e32 vcc, s50, v0
	v_cndmask_b32_e32 v0, v0, v1, vcc
	v_subrev_u32_e32 v1, s50, v0
	v_cmp_le_u32_e32 vcc, s50, v0
	v_cndmask_b32_e32 v0, v0, v1, vcc
	v_mov_b32_e32 v1, 0
.LBB14_111:
	s_or_b64 exec, exec, s[6:7]
	s_load_dwordx2 s[4:5], s[4:5], 0x40
	v_cvt_f64_f32_e32 v[8:9], v41
	v_pk_mov_b32 v[2:3], s[36:37], s[36:37] op_sel:[0,1]
	s_waitcnt lgkmcnt(0)
	v_mad_u64_u32 v[10:11], s[6:7], s33, v16, v[2:3]
	v_div_scale_f64 v[12:13], s[6:7], s[4:5], s[4:5], v[8:9]
	v_rcp_f64_e32 v[14:15], v[12:13]
	s_ashr_i32 s8, s33, 31
	v_mov_b32_e32 v2, v11
	v_mad_u64_u32 v[2:3], s[6:7], s8, v16, v[2:3]
	v_mov_b32_e32 v11, v2
	v_lshlrev_b64 v[2:3], 2, v[10:11]
	v_fma_f64 v[18:19], -v[12:13], v[14:15], 1.0
	v_mov_b32_e32 v5, s43
	v_add_co_u32_e32 v4, vcc, s42, v2
	v_fmac_f64_e32 v[14:15], v[14:15], v[18:19]
	v_addc_co_u32_e32 v5, vcc, v5, v3, vcc
	v_fma_f64 v[18:19], -v[12:13], v[14:15], 1.0
	v_fmac_f64_e32 v[14:15], v[14:15], v[18:19]
	v_div_scale_f64 v[18:19], vcc, v[8:9], s[4:5], v[8:9]
	v_mul_f64 v[20:21], v[18:19], v[14:15]
	v_fma_f64 v[12:13], -v[12:13], v[20:21], v[18:19]
	v_add_u32_e32 v17, 0x80, v0
	s_nop 0
	v_div_fmas_f64 v[12:13], v[12:13], v[14:15], v[20:21]
	v_div_fixup_f64 v[8:9], v[12:13], s[4:5], v[8:9]
	v_cvt_f32_f64_e32 v8, v[8:9]
	v_mov_b32_e32 v9, s41
	v_add_co_u32_e32 v14, vcc, s40, v2
	v_addc_co_u32_e32 v15, vcc, v9, v3, vcc
	v_cmp_lt_u64_e64 s[4:5], s[50:51], 2
	s_and_b64 vcc, exec, s[4:5]
	global_store_dword v[4:5], v17, off
	global_store_dword v[14:15], v8, off
	s_cbranch_vccnz .LBB14_121
; %bb.112:
	s_cmp_eq_u64 s[50:51], 2
	s_cbranch_scc1 .LBB14_117
; %bb.113:
	v_add_co_u32_e32 v2, vcc, 1, v0
	v_addc_co_u32_e32 v3, vcc, 0, v1, vcc
	s_add_u32 s4, s50, -1
	v_add_co_u32_e32 v12, vcc, 4, v4
	s_addc_u32 s5, s51, -1
	v_addc_co_u32_e32 v13, vcc, 0, v5, vcc
	s_and_b32 s6, s4, -2
	s_mov_b32 s7, s5
	v_add_co_u32_e32 v14, vcc, 4, v14
	v_pk_mov_b32 v[4:5], v[2:3], v[2:3] op_sel:[0,1]
	v_mov_b32_e32 v9, v8
	v_addc_co_u32_e32 v15, vcc, 0, v15, vcc
	s_mov_b64 s[8:9], s[6:7]
	v_pk_mov_b32 v[2:3], v[0:1], v[0:1] op_sel:[0,1]
.LBB14_114:                             ; =>This Inner Loop Header: Depth=1
	v_add_u32_e32 v19, 0x81, v4
	v_add_co_u32_e32 v4, vcc, 2, v4
	v_addc_co_u32_e32 v5, vcc, 0, v5, vcc
	v_add_u32_e32 v18, 0x81, v2
	v_add_co_u32_e32 v2, vcc, 2, v2
	v_addc_co_u32_e32 v3, vcc, 0, v3, vcc
	global_store_dwordx2 v[14:15], v[8:9], off
	v_add_co_u32_e32 v14, vcc, 8, v14
	v_addc_co_u32_e32 v15, vcc, 0, v15, vcc
	s_add_u32 s8, s8, -2
	global_store_dwordx2 v[12:13], v[18:19], off
	s_addc_u32 s9, s9, -1
	v_add_co_u32_e32 v12, vcc, 8, v12
	s_cmp_lg_u64 s[8:9], 0
	v_addc_co_u32_e32 v13, vcc, 0, v13, vcc
	s_cbranch_scc1 .LBB14_114
; %bb.115:
	s_cmp_eq_u64 s[4:5], s[6:7]
	s_cbranch_scc1 .LBB14_118
; %bb.116:
	v_mov_b32_e32 v1, s7
	v_add_co_u32_e32 v10, vcc, s6, v10
	s_or_b32 s4, s4, 1
	v_add_u32_e32 v0, s6, v0
	v_addc_co_u32_e32 v11, vcc, v11, v1, vcc
	s_cbranch_execnz .LBB14_119
	s_branch .LBB14_121
.LBB14_117:
	s_mov_b32 s4, 1
	s_cbranch_execnz .LBB14_119
	s_branch .LBB14_121
.LBB14_118:
	s_mov_b32 s4, 1
                                        ; implicit-def: $vgpr10_vgpr11
                                        ; implicit-def: $vgpr0
	s_branch .LBB14_121
.LBB14_119:
	v_add_u32_e32 v9, 0x81, v0
	v_lshlrev_b64 v[0:1], 2, v[10:11]
	v_add_co_u32_e32 v2, vcc, 4, v0
	v_addc_co_u32_e32 v3, vcc, 0, v1, vcc
	v_mov_b32_e32 v1, s41
	v_add_co_u32_e32 v0, vcc, s40, v2
	v_addc_co_u32_e32 v1, vcc, v1, v3, vcc
	v_mov_b32_e32 v4, s43
	v_add_co_u32_e32 v2, vcc, s42, v2
	s_mov_b32 s5, 0
	v_addc_co_u32_e32 v3, vcc, v4, v3, vcc
	v_pk_mov_b32 v[4:5], s[50:51], s[50:51] op_sel:[0,1]
.LBB14_120:                             ; =>This Inner Loop Header: Depth=1
	global_store_dword v[2:3], v9, off
	global_store_dword v[0:1], v8, off
	v_add_co_u32_e32 v0, vcc, 4, v0
	v_addc_co_u32_e32 v1, vcc, 0, v1, vcc
	s_add_u32 s4, s4, 1
	v_add_co_u32_e32 v2, vcc, 4, v2
	v_addc_co_u32_e32 v3, vcc, 0, v3, vcc
	s_addc_u32 s5, s5, 0
	v_cmp_lt_u64_e32 vcc, s[4:5], v[4:5]
	v_add_u32_e32 v9, 1, v9
	s_cbranch_vccnz .LBB14_120
.LBB14_121:
	s_or_b64 exec, exec, s[2:3]
	v_cmp_gt_i64_e64 s[4:5], s[48:49], 0
	s_mov_b64 s[2:3], 0
	s_and_b64 s[0:1], s[0:1], s[4:5]
	s_waitcnt lgkmcnt(0)
	s_barrier
	s_and_b64 exec, exec, s[0:1]
	s_cbranch_execz .LBB14_128
; %bb.122:
	v_mad_u64_u32 v[0:1], s[0:1], s33, v16, 0
	s_ashr_i32 s4, s33, 31
	v_mov_b32_e32 v2, v1
	v_mad_u64_u32 v[2:3], s[0:1], s4, v16, v[2:3]
	v_mov_b32_e32 v1, v2
	v_lshlrev_b64 v[0:1], 2, v[0:1]
	v_mov_b32_e32 v2, s41
	v_add_co_u32_e32 v4, vcc, s40, v0
	v_addc_co_u32_e32 v5, vcc, v2, v1, vcc
	v_cmp_lt_u64_e64 s[0:1], s[48:49], 8
	s_and_b64 vcc, exec, s[0:1]
	s_cbranch_vccnz .LBB14_125
; %bb.123:
	s_and_b32 s3, s49, 0x7fffffff
	s_and_b32 s2, s48, -8
	s_mov_b64 s[0:1], 0
	s_mov_b64 s[4:5], s[2:3]
.LBB14_124:                             ; =>This Inner Loop Header: Depth=1
	v_mov_b32_e32 v1, s1
	v_add_co_u32_e32 v2, vcc, s0, v6
	v_addc_co_u32_e32 v3, vcc, v7, v1, vcc
	flat_load_dword v8, v[2:3]
	v_add_co_u32_e32 v0, vcc, s0, v4
	v_addc_co_u32_e32 v1, vcc, v5, v1, vcc
	s_add_u32 s0, s0, 32
	s_addc_u32 s1, s1, 0
	s_add_u32 s4, s4, -8
	s_addc_u32 s5, s5, -1
	s_cmp_lg_u64 s[4:5], 0
	s_waitcnt vmcnt(0) lgkmcnt(0)
	v_div_scale_f32 v9, s[6:7], v41, v41, v8
	v_rcp_f32_e32 v11, v9
	v_div_scale_f32 v10, vcc, v8, v41, v8
	v_fma_f32 v12, -v9, v11, 1.0
	v_fmac_f32_e32 v11, v12, v11
	v_mul_f32_e32 v12, v10, v11
	v_fma_f32 v13, -v9, v12, v10
	v_fmac_f32_e32 v12, v13, v11
	v_fma_f32 v9, -v9, v12, v10
	v_div_fmas_f32 v9, v9, v11, v12
	v_div_fixup_f32 v8, v9, v41, v8
	global_store_dword v[0:1], v8, off
	flat_load_dword v8, v[2:3] offset:4
	s_waitcnt vmcnt(0) lgkmcnt(0)
	v_div_scale_f32 v9, s[6:7], v41, v41, v8
	v_rcp_f32_e32 v11, v9
	v_div_scale_f32 v10, vcc, v8, v41, v8
	v_fma_f32 v12, -v9, v11, 1.0
	v_fmac_f32_e32 v11, v12, v11
	v_mul_f32_e32 v12, v10, v11
	v_fma_f32 v13, -v9, v12, v10
	v_fmac_f32_e32 v12, v13, v11
	v_fma_f32 v9, -v9, v12, v10
	v_div_fmas_f32 v9, v9, v11, v12
	v_div_fixup_f32 v8, v9, v41, v8
	global_store_dword v[0:1], v8, off offset:4
	flat_load_dword v8, v[2:3] offset:8
	s_waitcnt vmcnt(0) lgkmcnt(0)
	v_div_scale_f32 v9, s[6:7], v41, v41, v8
	v_rcp_f32_e32 v11, v9
	v_div_scale_f32 v10, vcc, v8, v41, v8
	v_fma_f32 v12, -v9, v11, 1.0
	v_fmac_f32_e32 v11, v12, v11
	v_mul_f32_e32 v12, v10, v11
	v_fma_f32 v13, -v9, v12, v10
	v_fmac_f32_e32 v12, v13, v11
	v_fma_f32 v9, -v9, v12, v10
	v_div_fmas_f32 v9, v9, v11, v12
	v_div_fixup_f32 v8, v9, v41, v8
	global_store_dword v[0:1], v8, off offset:8
	;; [unrolled: 14-line block ×7, first 2 shown]
	s_cbranch_scc1 .LBB14_124
.LBB14_125:
	s_and_b32 s0, s48, 7
	s_mov_b32 s1, 0
	s_cmp_eq_u64 s[0:1], 0
	s_cbranch_scc1 .LBB14_128
; %bb.126:
	s_mov_b64 s[4:5], s[0:1]
.LBB14_127:                             ; =>This Inner Loop Header: Depth=1
	s_lshl_b64 s[6:7], s[2:3], 2
	v_mov_b32_e32 v2, s7
	v_add_co_u32_e32 v0, vcc, s6, v6
	v_addc_co_u32_e32 v1, vcc, v7, v2, vcc
	flat_load_dword v3, v[0:1]
	v_add_co_u32_e32 v0, vcc, s6, v4
	v_addc_co_u32_e32 v1, vcc, v5, v2, vcc
	s_add_i32 s0, s2, 1
	s_add_u32 s4, s4, -1
	s_addc_u32 s5, s5, -1
	s_mov_b64 s[2:3], s[0:1]
	s_cmp_lg_u64 s[4:5], 0
	s_waitcnt vmcnt(0) lgkmcnt(0)
	v_div_scale_f32 v2, s[6:7], v41, v41, v3
	v_rcp_f32_e32 v8, v2
	v_div_scale_f32 v9, vcc, v3, v41, v3
	v_fma_f32 v10, -v2, v8, 1.0
	v_fmac_f32_e32 v8, v10, v8
	v_mul_f32_e32 v10, v9, v8
	v_fma_f32 v11, -v2, v10, v9
	v_fmac_f32_e32 v10, v11, v8
	v_fma_f32 v2, -v2, v10, v9
	v_div_fmas_f32 v2, v2, v8, v10
	v_div_fixup_f32 v2, v2, v41, v3
	global_store_dword v[0:1], v2, off
	s_cbranch_scc1 .LBB14_127
.LBB14_128:
	s_endpgm
	.section	.rodata,"a",@progbits
	.p2align	6, 0x0
	.amdhsa_kernel _Z21moe_fused_gate_kernelIDF16_Li16ELi128ELi8ELi1EEvPvS0_PfPilllldi
		.amdhsa_group_segment_fixed_size 0
		.amdhsa_private_segment_fixed_size 0
		.amdhsa_kernarg_size 76
		.amdhsa_user_sgpr_count 6
		.amdhsa_user_sgpr_private_segment_buffer 1
		.amdhsa_user_sgpr_dispatch_ptr 0
		.amdhsa_user_sgpr_queue_ptr 0
		.amdhsa_user_sgpr_kernarg_segment_ptr 1
		.amdhsa_user_sgpr_dispatch_id 0
		.amdhsa_user_sgpr_flat_scratch_init 0
		.amdhsa_user_sgpr_kernarg_preload_length 0
		.amdhsa_user_sgpr_kernarg_preload_offset 0
		.amdhsa_user_sgpr_private_segment_size 0
		.amdhsa_uses_dynamic_stack 0
		.amdhsa_system_sgpr_private_segment_wavefront_offset 0
		.amdhsa_system_sgpr_workgroup_id_x 1
		.amdhsa_system_sgpr_workgroup_id_y 0
		.amdhsa_system_sgpr_workgroup_id_z 0
		.amdhsa_system_sgpr_workgroup_info 0
		.amdhsa_system_vgpr_workitem_id 1
		.amdhsa_next_free_vgpr 50
		.amdhsa_next_free_sgpr 53
		.amdhsa_accum_offset 52
		.amdhsa_reserve_vcc 1
		.amdhsa_reserve_flat_scratch 0
		.amdhsa_float_round_mode_32 0
		.amdhsa_float_round_mode_16_64 0
		.amdhsa_float_denorm_mode_32 3
		.amdhsa_float_denorm_mode_16_64 3
		.amdhsa_dx10_clamp 1
		.amdhsa_ieee_mode 1
		.amdhsa_fp16_overflow 0
		.amdhsa_tg_split 0
		.amdhsa_exception_fp_ieee_invalid_op 0
		.amdhsa_exception_fp_denorm_src 0
		.amdhsa_exception_fp_ieee_div_zero 0
		.amdhsa_exception_fp_ieee_overflow 0
		.amdhsa_exception_fp_ieee_underflow 0
		.amdhsa_exception_fp_ieee_inexact 0
		.amdhsa_exception_int_div_zero 0
	.end_amdhsa_kernel
	.section	.text._Z21moe_fused_gate_kernelIDF16_Li16ELi128ELi8ELi1EEvPvS0_PfPilllldi,"axG",@progbits,_Z21moe_fused_gate_kernelIDF16_Li16ELi128ELi8ELi1EEvPvS0_PfPilllldi,comdat
.Lfunc_end14:
	.size	_Z21moe_fused_gate_kernelIDF16_Li16ELi128ELi8ELi1EEvPvS0_PfPilllldi, .Lfunc_end14-_Z21moe_fused_gate_kernelIDF16_Li16ELi128ELi8ELi1EEvPvS0_PfPilllldi
                                        ; -- End function
	.section	.AMDGPU.csdata,"",@progbits
; Kernel info:
; codeLenInByte = 7600
; NumSgprs: 57
; NumVgprs: 50
; NumAgprs: 0
; TotalNumVgprs: 50
; ScratchSize: 0
; MemoryBound: 0
; FloatMode: 240
; IeeeMode: 1
; LDSByteSize: 0 bytes/workgroup (compile time only)
; SGPRBlocks: 7
; VGPRBlocks: 6
; NumSGPRsForWavesPerEU: 57
; NumVGPRsForWavesPerEU: 50
; AccumOffset: 52
; Occupancy: 8
; WaveLimiterHint : 0
; COMPUTE_PGM_RSRC2:SCRATCH_EN: 0
; COMPUTE_PGM_RSRC2:USER_SGPR: 6
; COMPUTE_PGM_RSRC2:TRAP_HANDLER: 0
; COMPUTE_PGM_RSRC2:TGID_X_EN: 1
; COMPUTE_PGM_RSRC2:TGID_Y_EN: 0
; COMPUTE_PGM_RSRC2:TGID_Z_EN: 0
; COMPUTE_PGM_RSRC2:TIDIG_COMP_CNT: 1
; COMPUTE_PGM_RSRC3_GFX90A:ACCUM_OFFSET: 12
; COMPUTE_PGM_RSRC3_GFX90A:TG_SPLIT: 0
	.section	.text._Z21moe_fused_gate_kernelIfLi16ELi128ELi8ELi1EEvPvS0_PfPilllldi,"axG",@progbits,_Z21moe_fused_gate_kernelIfLi16ELi128ELi8ELi1EEvPvS0_PfPilllldi,comdat
	.protected	_Z21moe_fused_gate_kernelIfLi16ELi128ELi8ELi1EEvPvS0_PfPilllldi ; -- Begin function _Z21moe_fused_gate_kernelIfLi16ELi128ELi8ELi1EEvPvS0_PfPilllldi
	.globl	_Z21moe_fused_gate_kernelIfLi16ELi128ELi8ELi1EEvPvS0_PfPilllldi
	.p2align	8
	.type	_Z21moe_fused_gate_kernelIfLi16ELi128ELi8ELi1EEvPvS0_PfPilllldi,@function
_Z21moe_fused_gate_kernelIfLi16ELi128ELi8ELi1EEvPvS0_PfPilllldi: ; @_Z21moe_fused_gate_kernelIfLi16ELi128ELi8ELi1EEvPvS0_PfPilllldi
; %bb.0:
	s_load_dwordx16 s[36:51], s[4:5], 0x0
	v_and_b32_e32 v1, 0x3ff, v0
	v_bfe_u32 v0, v0, 10, 10
	v_add_u32_e32 v0, s6, v0
	v_lshrrev_b32_e32 v37, 3, v1
	v_mov_b32_e32 v35, 0
	v_lshl_add_u32 v32, v0, 3, v37
	v_mov_b32_e32 v33, v35
	s_waitcnt lgkmcnt(0)
	v_cmp_gt_i64_e32 vcc, s[44:45], v[32:33]
	s_and_saveexec_b64 s[0:1], vcc
	s_cbranch_execz .LBB15_128
; %bb.1:
	v_lshlrev_b64 v[2:3], 9, v[32:33]
	v_mov_b32_e32 v0, s37
	v_add_co_u32_e32 v2, vcc, s36, v2
	v_and_b32_e32 v34, 7, v1
	v_addc_co_u32_e32 v0, vcc, v0, v3, vcc
	v_lshlrev_b32_e32 v36, 6, v34
	v_add_co_u32_e32 v38, vcc, v2, v36
	v_addc_co_u32_e32 v39, vcc, 0, v0, vcc
	global_load_dwordx4 v[16:19], v[38:39], off offset:48
	global_load_dwordx4 v[20:23], v[38:39], off offset:32
	;; [unrolled: 1-line block ×3, first 2 shown]
	global_load_dwordx4 v[28:31], v[38:39], off
	global_load_dwordx4 v[0:3], v36, s[38:39] offset:48
	global_load_dwordx4 v[4:7], v36, s[38:39] offset:32
	;; [unrolled: 1-line block ×3, first 2 shown]
	global_load_dwordx4 v[12:15], v36, s[38:39]
	s_waitcnt vmcnt(4)
	v_cmp_o_f32_e32 vcc, v28, v28
	s_and_saveexec_b64 s[0:1], vcc
	s_cbranch_execz .LBB15_3
; %bb.2:
	v_mul_f32_e32 v35, 0xbfb8aa3b, v28
	s_mov_b32 s2, 0xbfb8aa3b
	v_rndne_f32_e32 v36, v35
	v_sub_f32_e32 v38, v35, v36
	v_fma_f32 v35, v28, s2, -v35
	v_fmac_f32_e32 v35, 0xb2a5705f, v28
	v_add_f32_e32 v35, v38, v35
	v_exp_f32_e32 v35, v35
	v_cvt_i32_f32_e32 v36, v36
	s_mov_b32 s2, 0x42ce8ed0
	v_cmp_nlt_f32_e32 vcc, s2, v28
	s_mov_b32 s2, 0xc2b17218
	v_ldexp_f32 v35, v35, v36
	v_cndmask_b32_e32 v35, 0, v35, vcc
	v_mov_b32_e32 v36, 0x7f800000
	v_cmp_ngt_f32_e32 vcc, s2, v28
	v_cndmask_b32_e32 v28, v36, v35, vcc
	v_add_f32_e32 v28, 1.0, v28
	v_div_scale_f32 v35, s[2:3], v28, v28, 1.0
	v_rcp_f32_e32 v36, v35
	v_fma_f32 v38, -v35, v36, 1.0
	v_fmac_f32_e32 v36, v38, v36
	v_div_scale_f32 v38, vcc, 1.0, v28, 1.0
	v_mul_f32_e32 v39, v38, v36
	v_fma_f32 v40, -v35, v39, v38
	v_fmac_f32_e32 v39, v40, v36
	v_fma_f32 v35, -v35, v39, v38
	v_div_fmas_f32 v35, v35, v36, v39
	v_div_fixup_f32 v35, v35, v28, 1.0
.LBB15_3:
	s_or_b64 exec, exec, s[0:1]
	v_cmp_o_f32_e32 vcc, v29, v29
	v_mov_b32_e32 v28, 0
	v_mov_b32_e32 v36, 0
	s_and_saveexec_b64 s[0:1], vcc
	s_cbranch_execz .LBB15_5
; %bb.4:
	v_mul_f32_e32 v36, 0xbfb8aa3b, v29
	s_mov_b32 s2, 0xbfb8aa3b
	v_rndne_f32_e32 v38, v36
	v_sub_f32_e32 v39, v36, v38
	v_fma_f32 v36, v29, s2, -v36
	v_fmac_f32_e32 v36, 0xb2a5705f, v29
	v_add_f32_e32 v36, v39, v36
	v_exp_f32_e32 v36, v36
	v_cvt_i32_f32_e32 v38, v38
	s_mov_b32 s2, 0x42ce8ed0
	v_cmp_nlt_f32_e32 vcc, s2, v29
	s_mov_b32 s2, 0xc2b17218
	v_ldexp_f32 v36, v36, v38
	v_cndmask_b32_e32 v36, 0, v36, vcc
	v_mov_b32_e32 v38, 0x7f800000
	v_cmp_ngt_f32_e32 vcc, s2, v29
	v_cndmask_b32_e32 v29, v38, v36, vcc
	v_add_f32_e32 v29, 1.0, v29
	v_div_scale_f32 v36, s[2:3], v29, v29, 1.0
	v_rcp_f32_e32 v38, v36
	v_fma_f32 v39, -v36, v38, 1.0
	v_fmac_f32_e32 v38, v39, v38
	v_div_scale_f32 v39, vcc, 1.0, v29, 1.0
	v_mul_f32_e32 v40, v39, v38
	v_fma_f32 v41, -v36, v40, v39
	v_fmac_f32_e32 v40, v41, v38
	v_fma_f32 v36, -v36, v40, v39
	v_div_fmas_f32 v36, v36, v38, v40
	v_div_fixup_f32 v36, v36, v29, 1.0
.LBB15_5:
	s_or_b64 exec, exec, s[0:1]
	v_cmp_o_f32_e32 vcc, v30, v30
	s_and_saveexec_b64 s[0:1], vcc
	s_cbranch_execz .LBB15_7
; %bb.6:
	v_mul_f32_e32 v28, 0xbfb8aa3b, v30
	s_mov_b32 s2, 0xbfb8aa3b
	v_rndne_f32_e32 v29, v28
	v_sub_f32_e32 v38, v28, v29
	v_fma_f32 v28, v30, s2, -v28
	v_fmac_f32_e32 v28, 0xb2a5705f, v30
	v_add_f32_e32 v28, v38, v28
	v_exp_f32_e32 v28, v28
	v_cvt_i32_f32_e32 v29, v29
	s_mov_b32 s2, 0x42ce8ed0
	v_cmp_nlt_f32_e32 vcc, s2, v30
	s_mov_b32 s2, 0xc2b17218
	v_ldexp_f32 v28, v28, v29
	v_cndmask_b32_e32 v28, 0, v28, vcc
	v_mov_b32_e32 v29, 0x7f800000
	v_cmp_ngt_f32_e32 vcc, s2, v30
	v_cndmask_b32_e32 v28, v29, v28, vcc
	v_add_f32_e32 v28, 1.0, v28
	v_div_scale_f32 v29, s[2:3], v28, v28, 1.0
	v_rcp_f32_e32 v30, v29
	v_fma_f32 v38, -v29, v30, 1.0
	v_fmac_f32_e32 v30, v38, v30
	v_div_scale_f32 v38, vcc, 1.0, v28, 1.0
	v_mul_f32_e32 v39, v38, v30
	v_fma_f32 v40, -v29, v39, v38
	v_fmac_f32_e32 v39, v40, v30
	v_fma_f32 v29, -v29, v39, v38
	v_div_fmas_f32 v29, v29, v30, v39
	v_div_fixup_f32 v28, v29, v28, 1.0
.LBB15_7:
	s_or_b64 exec, exec, s[0:1]
	v_cmp_o_f32_e32 vcc, v31, v31
	v_mov_b32_e32 v29, 0
	v_mov_b32_e32 v30, 0
	s_and_saveexec_b64 s[0:1], vcc
	s_cbranch_execz .LBB15_9
; %bb.8:
	v_mul_f32_e32 v30, 0xbfb8aa3b, v31
	s_mov_b32 s2, 0xbfb8aa3b
	v_rndne_f32_e32 v38, v30
	v_sub_f32_e32 v39, v30, v38
	v_fma_f32 v30, v31, s2, -v30
	v_fmac_f32_e32 v30, 0xb2a5705f, v31
	v_add_f32_e32 v30, v39, v30
	v_exp_f32_e32 v30, v30
	v_cvt_i32_f32_e32 v38, v38
	s_mov_b32 s2, 0x42ce8ed0
	v_cmp_nlt_f32_e32 vcc, s2, v31
	s_mov_b32 s2, 0xc2b17218
	v_ldexp_f32 v30, v30, v38
	v_cndmask_b32_e32 v30, 0, v30, vcc
	v_mov_b32_e32 v38, 0x7f800000
	v_cmp_ngt_f32_e32 vcc, s2, v31
	v_cndmask_b32_e32 v30, v38, v30, vcc
	v_add_f32_e32 v30, 1.0, v30
	v_div_scale_f32 v31, s[2:3], v30, v30, 1.0
	v_rcp_f32_e32 v38, v31
	v_fma_f32 v39, -v31, v38, 1.0
	v_fmac_f32_e32 v38, v39, v38
	v_div_scale_f32 v39, vcc, 1.0, v30, 1.0
	v_mul_f32_e32 v40, v39, v38
	v_fma_f32 v41, -v31, v40, v39
	v_fmac_f32_e32 v40, v41, v38
	v_fma_f32 v31, -v31, v40, v39
	v_div_fmas_f32 v31, v31, v38, v40
	v_div_fixup_f32 v30, v31, v30, 1.0
.LBB15_9:
	s_or_b64 exec, exec, s[0:1]
	v_cmp_o_f32_e32 vcc, v24, v24
	s_and_saveexec_b64 s[0:1], vcc
	s_cbranch_execz .LBB15_11
; %bb.10:
	v_mul_f32_e32 v29, 0xbfb8aa3b, v24
	s_mov_b32 s2, 0xbfb8aa3b
	v_rndne_f32_e32 v31, v29
	v_sub_f32_e32 v38, v29, v31
	v_fma_f32 v29, v24, s2, -v29
	v_fmac_f32_e32 v29, 0xb2a5705f, v24
	v_add_f32_e32 v29, v38, v29
	v_exp_f32_e32 v29, v29
	v_cvt_i32_f32_e32 v31, v31
	s_mov_b32 s2, 0x42ce8ed0
	v_cmp_nlt_f32_e32 vcc, s2, v24
	s_mov_b32 s2, 0xc2b17218
	v_ldexp_f32 v29, v29, v31
	v_cndmask_b32_e32 v29, 0, v29, vcc
	v_mov_b32_e32 v31, 0x7f800000
	v_cmp_ngt_f32_e32 vcc, s2, v24
	v_cndmask_b32_e32 v24, v31, v29, vcc
	v_add_f32_e32 v24, 1.0, v24
	v_div_scale_f32 v29, s[2:3], v24, v24, 1.0
	v_rcp_f32_e32 v31, v29
	v_fma_f32 v38, -v29, v31, 1.0
	v_fmac_f32_e32 v31, v38, v31
	v_div_scale_f32 v38, vcc, 1.0, v24, 1.0
	v_mul_f32_e32 v39, v38, v31
	v_fma_f32 v40, -v29, v39, v38
	v_fmac_f32_e32 v39, v40, v31
	v_fma_f32 v29, -v29, v39, v38
	v_div_fmas_f32 v29, v29, v31, v39
	v_div_fixup_f32 v29, v29, v24, 1.0
.LBB15_11:
	s_or_b64 exec, exec, s[0:1]
	v_cmp_o_f32_e32 vcc, v25, v25
	v_mov_b32_e32 v24, 0
	v_mov_b32_e32 v31, 0
	s_and_saveexec_b64 s[0:1], vcc
	s_cbranch_execz .LBB15_13
; %bb.12:
	v_mul_f32_e32 v31, 0xbfb8aa3b, v25
	s_mov_b32 s2, 0xbfb8aa3b
	v_rndne_f32_e32 v38, v31
	v_sub_f32_e32 v39, v31, v38
	v_fma_f32 v31, v25, s2, -v31
	v_fmac_f32_e32 v31, 0xb2a5705f, v25
	v_add_f32_e32 v31, v39, v31
	v_exp_f32_e32 v31, v31
	v_cvt_i32_f32_e32 v38, v38
	s_mov_b32 s2, 0x42ce8ed0
	v_cmp_nlt_f32_e32 vcc, s2, v25
	s_mov_b32 s2, 0xc2b17218
	v_ldexp_f32 v31, v31, v38
	v_cndmask_b32_e32 v31, 0, v31, vcc
	v_mov_b32_e32 v38, 0x7f800000
	v_cmp_ngt_f32_e32 vcc, s2, v25
	v_cndmask_b32_e32 v25, v38, v31, vcc
	v_add_f32_e32 v25, 1.0, v25
	v_div_scale_f32 v31, s[2:3], v25, v25, 1.0
	v_rcp_f32_e32 v38, v31
	v_fma_f32 v39, -v31, v38, 1.0
	v_fmac_f32_e32 v38, v39, v38
	v_div_scale_f32 v39, vcc, 1.0, v25, 1.0
	v_mul_f32_e32 v40, v39, v38
	v_fma_f32 v41, -v31, v40, v39
	v_fmac_f32_e32 v40, v41, v38
	v_fma_f32 v31, -v31, v40, v39
	v_div_fmas_f32 v31, v31, v38, v40
	v_div_fixup_f32 v31, v31, v25, 1.0
.LBB15_13:
	s_or_b64 exec, exec, s[0:1]
	v_cmp_o_f32_e32 vcc, v26, v26
	s_and_saveexec_b64 s[0:1], vcc
	s_cbranch_execz .LBB15_15
; %bb.14:
	v_mul_f32_e32 v24, 0xbfb8aa3b, v26
	s_mov_b32 s2, 0xbfb8aa3b
	v_rndne_f32_e32 v25, v24
	v_sub_f32_e32 v38, v24, v25
	v_fma_f32 v24, v26, s2, -v24
	v_fmac_f32_e32 v24, 0xb2a5705f, v26
	v_add_f32_e32 v24, v38, v24
	v_exp_f32_e32 v24, v24
	v_cvt_i32_f32_e32 v25, v25
	s_mov_b32 s2, 0x42ce8ed0
	v_cmp_nlt_f32_e32 vcc, s2, v26
	s_mov_b32 s2, 0xc2b17218
	v_ldexp_f32 v24, v24, v25
	v_cndmask_b32_e32 v24, 0, v24, vcc
	v_mov_b32_e32 v25, 0x7f800000
	v_cmp_ngt_f32_e32 vcc, s2, v26
	v_cndmask_b32_e32 v24, v25, v24, vcc
	v_add_f32_e32 v24, 1.0, v24
	v_div_scale_f32 v25, s[2:3], v24, v24, 1.0
	v_rcp_f32_e32 v26, v25
	v_fma_f32 v38, -v25, v26, 1.0
	v_fmac_f32_e32 v26, v38, v26
	v_div_scale_f32 v38, vcc, 1.0, v24, 1.0
	v_mul_f32_e32 v39, v38, v26
	v_fma_f32 v40, -v25, v39, v38
	v_fmac_f32_e32 v39, v40, v26
	v_fma_f32 v25, -v25, v39, v38
	v_div_fmas_f32 v25, v25, v26, v39
	v_div_fixup_f32 v24, v25, v24, 1.0
.LBB15_15:
	s_or_b64 exec, exec, s[0:1]
	v_cmp_o_f32_e32 vcc, v27, v27
	v_mov_b32_e32 v25, 0
	v_mov_b32_e32 v26, 0
	s_and_saveexec_b64 s[0:1], vcc
	s_cbranch_execz .LBB15_17
; %bb.16:
	v_mul_f32_e32 v26, 0xbfb8aa3b, v27
	s_mov_b32 s2, 0xbfb8aa3b
	v_rndne_f32_e32 v38, v26
	v_sub_f32_e32 v39, v26, v38
	v_fma_f32 v26, v27, s2, -v26
	v_fmac_f32_e32 v26, 0xb2a5705f, v27
	v_add_f32_e32 v26, v39, v26
	v_exp_f32_e32 v26, v26
	v_cvt_i32_f32_e32 v38, v38
	s_mov_b32 s2, 0x42ce8ed0
	v_cmp_nlt_f32_e32 vcc, s2, v27
	s_mov_b32 s2, 0xc2b17218
	v_ldexp_f32 v26, v26, v38
	v_cndmask_b32_e32 v26, 0, v26, vcc
	v_mov_b32_e32 v38, 0x7f800000
	v_cmp_ngt_f32_e32 vcc, s2, v27
	v_cndmask_b32_e32 v26, v38, v26, vcc
	v_add_f32_e32 v26, 1.0, v26
	v_div_scale_f32 v27, s[2:3], v26, v26, 1.0
	v_rcp_f32_e32 v38, v27
	v_fma_f32 v39, -v27, v38, 1.0
	v_fmac_f32_e32 v38, v39, v38
	v_div_scale_f32 v39, vcc, 1.0, v26, 1.0
	v_mul_f32_e32 v40, v39, v38
	v_fma_f32 v41, -v27, v40, v39
	v_fmac_f32_e32 v40, v41, v38
	v_fma_f32 v27, -v27, v40, v39
	v_div_fmas_f32 v27, v27, v38, v40
	v_div_fixup_f32 v26, v27, v26, 1.0
.LBB15_17:
	s_or_b64 exec, exec, s[0:1]
	v_cmp_o_f32_e32 vcc, v20, v20
	s_and_saveexec_b64 s[0:1], vcc
	s_cbranch_execz .LBB15_19
; %bb.18:
	v_mul_f32_e32 v25, 0xbfb8aa3b, v20
	s_mov_b32 s2, 0xbfb8aa3b
	v_rndne_f32_e32 v27, v25
	v_sub_f32_e32 v38, v25, v27
	v_fma_f32 v25, v20, s2, -v25
	v_fmac_f32_e32 v25, 0xb2a5705f, v20
	v_add_f32_e32 v25, v38, v25
	v_exp_f32_e32 v25, v25
	v_cvt_i32_f32_e32 v27, v27
	s_mov_b32 s2, 0x42ce8ed0
	v_cmp_nlt_f32_e32 vcc, s2, v20
	s_mov_b32 s2, 0xc2b17218
	v_ldexp_f32 v25, v25, v27
	v_cndmask_b32_e32 v25, 0, v25, vcc
	v_mov_b32_e32 v27, 0x7f800000
	v_cmp_ngt_f32_e32 vcc, s2, v20
	v_cndmask_b32_e32 v20, v27, v25, vcc
	v_add_f32_e32 v20, 1.0, v20
	v_div_scale_f32 v25, s[2:3], v20, v20, 1.0
	v_rcp_f32_e32 v27, v25
	v_fma_f32 v38, -v25, v27, 1.0
	v_fmac_f32_e32 v27, v38, v27
	v_div_scale_f32 v38, vcc, 1.0, v20, 1.0
	v_mul_f32_e32 v39, v38, v27
	v_fma_f32 v40, -v25, v39, v38
	v_fmac_f32_e32 v39, v40, v27
	v_fma_f32 v25, -v25, v39, v38
	v_div_fmas_f32 v25, v25, v27, v39
	v_div_fixup_f32 v25, v25, v20, 1.0
.LBB15_19:
	s_or_b64 exec, exec, s[0:1]
	v_cmp_o_f32_e32 vcc, v21, v21
	v_mov_b32_e32 v20, 0
	v_mov_b32_e32 v27, 0
	s_and_saveexec_b64 s[0:1], vcc
	s_cbranch_execz .LBB15_21
; %bb.20:
	v_mul_f32_e32 v27, 0xbfb8aa3b, v21
	s_mov_b32 s2, 0xbfb8aa3b
	v_rndne_f32_e32 v38, v27
	v_sub_f32_e32 v39, v27, v38
	v_fma_f32 v27, v21, s2, -v27
	v_fmac_f32_e32 v27, 0xb2a5705f, v21
	v_add_f32_e32 v27, v39, v27
	v_exp_f32_e32 v27, v27
	v_cvt_i32_f32_e32 v38, v38
	s_mov_b32 s2, 0x42ce8ed0
	v_cmp_nlt_f32_e32 vcc, s2, v21
	s_mov_b32 s2, 0xc2b17218
	v_ldexp_f32 v27, v27, v38
	v_cndmask_b32_e32 v27, 0, v27, vcc
	v_mov_b32_e32 v38, 0x7f800000
	v_cmp_ngt_f32_e32 vcc, s2, v21
	v_cndmask_b32_e32 v21, v38, v27, vcc
	v_add_f32_e32 v21, 1.0, v21
	v_div_scale_f32 v27, s[2:3], v21, v21, 1.0
	v_rcp_f32_e32 v38, v27
	v_fma_f32 v39, -v27, v38, 1.0
	v_fmac_f32_e32 v38, v39, v38
	v_div_scale_f32 v39, vcc, 1.0, v21, 1.0
	v_mul_f32_e32 v40, v39, v38
	v_fma_f32 v41, -v27, v40, v39
	v_fmac_f32_e32 v40, v41, v38
	v_fma_f32 v27, -v27, v40, v39
	v_div_fmas_f32 v27, v27, v38, v40
	v_div_fixup_f32 v27, v27, v21, 1.0
.LBB15_21:
	s_or_b64 exec, exec, s[0:1]
	v_cmp_o_f32_e32 vcc, v22, v22
	s_and_saveexec_b64 s[0:1], vcc
	s_cbranch_execz .LBB15_23
; %bb.22:
	v_mul_f32_e32 v20, 0xbfb8aa3b, v22
	s_mov_b32 s2, 0xbfb8aa3b
	v_rndne_f32_e32 v21, v20
	v_sub_f32_e32 v38, v20, v21
	v_fma_f32 v20, v22, s2, -v20
	v_fmac_f32_e32 v20, 0xb2a5705f, v22
	v_add_f32_e32 v20, v38, v20
	v_exp_f32_e32 v20, v20
	v_cvt_i32_f32_e32 v21, v21
	s_mov_b32 s2, 0x42ce8ed0
	v_cmp_nlt_f32_e32 vcc, s2, v22
	s_mov_b32 s2, 0xc2b17218
	v_ldexp_f32 v20, v20, v21
	v_cndmask_b32_e32 v20, 0, v20, vcc
	v_mov_b32_e32 v21, 0x7f800000
	v_cmp_ngt_f32_e32 vcc, s2, v22
	v_cndmask_b32_e32 v20, v21, v20, vcc
	v_add_f32_e32 v20, 1.0, v20
	v_div_scale_f32 v21, s[2:3], v20, v20, 1.0
	v_rcp_f32_e32 v22, v21
	v_fma_f32 v38, -v21, v22, 1.0
	v_fmac_f32_e32 v22, v38, v22
	v_div_scale_f32 v38, vcc, 1.0, v20, 1.0
	v_mul_f32_e32 v39, v38, v22
	v_fma_f32 v40, -v21, v39, v38
	v_fmac_f32_e32 v39, v40, v22
	v_fma_f32 v21, -v21, v39, v38
	v_div_fmas_f32 v21, v21, v22, v39
	v_div_fixup_f32 v20, v21, v20, 1.0
.LBB15_23:
	s_or_b64 exec, exec, s[0:1]
	v_cmp_o_f32_e32 vcc, v23, v23
	v_mov_b32_e32 v21, 0
	v_mov_b32_e32 v22, 0
	s_and_saveexec_b64 s[0:1], vcc
	s_cbranch_execz .LBB15_25
; %bb.24:
	v_mul_f32_e32 v22, 0xbfb8aa3b, v23
	s_mov_b32 s2, 0xbfb8aa3b
	v_rndne_f32_e32 v38, v22
	v_sub_f32_e32 v39, v22, v38
	v_fma_f32 v22, v23, s2, -v22
	v_fmac_f32_e32 v22, 0xb2a5705f, v23
	v_add_f32_e32 v22, v39, v22
	v_exp_f32_e32 v22, v22
	v_cvt_i32_f32_e32 v38, v38
	s_mov_b32 s2, 0x42ce8ed0
	v_cmp_nlt_f32_e32 vcc, s2, v23
	s_mov_b32 s2, 0xc2b17218
	v_ldexp_f32 v22, v22, v38
	v_cndmask_b32_e32 v22, 0, v22, vcc
	v_mov_b32_e32 v38, 0x7f800000
	v_cmp_ngt_f32_e32 vcc, s2, v23
	v_cndmask_b32_e32 v22, v38, v22, vcc
	v_add_f32_e32 v22, 1.0, v22
	v_div_scale_f32 v23, s[2:3], v22, v22, 1.0
	v_rcp_f32_e32 v38, v23
	v_fma_f32 v39, -v23, v38, 1.0
	v_fmac_f32_e32 v38, v39, v38
	v_div_scale_f32 v39, vcc, 1.0, v22, 1.0
	v_mul_f32_e32 v40, v39, v38
	v_fma_f32 v41, -v23, v40, v39
	v_fmac_f32_e32 v40, v41, v38
	v_fma_f32 v23, -v23, v40, v39
	v_div_fmas_f32 v23, v23, v38, v40
	v_div_fixup_f32 v22, v23, v22, 1.0
.LBB15_25:
	s_or_b64 exec, exec, s[0:1]
	v_cmp_o_f32_e32 vcc, v16, v16
	s_and_saveexec_b64 s[0:1], vcc
	s_cbranch_execz .LBB15_27
; %bb.26:
	v_mul_f32_e32 v21, 0xbfb8aa3b, v16
	s_mov_b32 s2, 0xbfb8aa3b
	v_rndne_f32_e32 v23, v21
	v_sub_f32_e32 v38, v21, v23
	v_fma_f32 v21, v16, s2, -v21
	v_fmac_f32_e32 v21, 0xb2a5705f, v16
	v_add_f32_e32 v21, v38, v21
	v_exp_f32_e32 v21, v21
	v_cvt_i32_f32_e32 v23, v23
	s_mov_b32 s2, 0x42ce8ed0
	v_cmp_nlt_f32_e32 vcc, s2, v16
	s_mov_b32 s2, 0xc2b17218
	v_ldexp_f32 v21, v21, v23
	v_cndmask_b32_e32 v21, 0, v21, vcc
	v_mov_b32_e32 v23, 0x7f800000
	v_cmp_ngt_f32_e32 vcc, s2, v16
	v_cndmask_b32_e32 v16, v23, v21, vcc
	v_add_f32_e32 v16, 1.0, v16
	v_div_scale_f32 v21, s[2:3], v16, v16, 1.0
	v_rcp_f32_e32 v23, v21
	v_fma_f32 v38, -v21, v23, 1.0
	v_fmac_f32_e32 v23, v38, v23
	v_div_scale_f32 v38, vcc, 1.0, v16, 1.0
	v_mul_f32_e32 v39, v38, v23
	v_fma_f32 v40, -v21, v39, v38
	v_fmac_f32_e32 v39, v40, v23
	v_fma_f32 v21, -v21, v39, v38
	v_div_fmas_f32 v21, v21, v23, v39
	v_div_fixup_f32 v21, v21, v16, 1.0
.LBB15_27:
	s_or_b64 exec, exec, s[0:1]
	v_cmp_o_f32_e32 vcc, v17, v17
	v_mov_b32_e32 v16, 0
	v_mov_b32_e32 v23, 0
	s_and_saveexec_b64 s[0:1], vcc
	s_cbranch_execz .LBB15_29
; %bb.28:
	v_mul_f32_e32 v23, 0xbfb8aa3b, v17
	s_mov_b32 s2, 0xbfb8aa3b
	v_rndne_f32_e32 v38, v23
	v_sub_f32_e32 v39, v23, v38
	v_fma_f32 v23, v17, s2, -v23
	v_fmac_f32_e32 v23, 0xb2a5705f, v17
	v_add_f32_e32 v23, v39, v23
	v_exp_f32_e32 v23, v23
	v_cvt_i32_f32_e32 v38, v38
	s_mov_b32 s2, 0x42ce8ed0
	v_cmp_nlt_f32_e32 vcc, s2, v17
	s_mov_b32 s2, 0xc2b17218
	v_ldexp_f32 v23, v23, v38
	v_cndmask_b32_e32 v23, 0, v23, vcc
	v_mov_b32_e32 v38, 0x7f800000
	v_cmp_ngt_f32_e32 vcc, s2, v17
	v_cndmask_b32_e32 v17, v38, v23, vcc
	v_add_f32_e32 v17, 1.0, v17
	v_div_scale_f32 v23, s[2:3], v17, v17, 1.0
	v_rcp_f32_e32 v38, v23
	v_fma_f32 v39, -v23, v38, 1.0
	v_fmac_f32_e32 v38, v39, v38
	v_div_scale_f32 v39, vcc, 1.0, v17, 1.0
	v_mul_f32_e32 v40, v39, v38
	v_fma_f32 v41, -v23, v40, v39
	v_fmac_f32_e32 v40, v41, v38
	v_fma_f32 v23, -v23, v40, v39
	v_div_fmas_f32 v23, v23, v38, v40
	v_div_fixup_f32 v23, v23, v17, 1.0
.LBB15_29:
	s_or_b64 exec, exec, s[0:1]
	v_cmp_o_f32_e32 vcc, v18, v18
	s_and_saveexec_b64 s[0:1], vcc
	s_cbranch_execz .LBB15_31
; %bb.30:
	v_mul_f32_e32 v16, 0xbfb8aa3b, v18
	s_mov_b32 s2, 0xbfb8aa3b
	v_rndne_f32_e32 v17, v16
	v_sub_f32_e32 v38, v16, v17
	v_fma_f32 v16, v18, s2, -v16
	v_fmac_f32_e32 v16, 0xb2a5705f, v18
	v_add_f32_e32 v16, v38, v16
	v_exp_f32_e32 v16, v16
	v_cvt_i32_f32_e32 v17, v17
	s_mov_b32 s2, 0x42ce8ed0
	v_cmp_nlt_f32_e32 vcc, s2, v18
	s_mov_b32 s2, 0xc2b17218
	v_ldexp_f32 v16, v16, v17
	v_cndmask_b32_e32 v16, 0, v16, vcc
	v_mov_b32_e32 v17, 0x7f800000
	v_cmp_ngt_f32_e32 vcc, s2, v18
	v_cndmask_b32_e32 v16, v17, v16, vcc
	v_add_f32_e32 v16, 1.0, v16
	v_div_scale_f32 v17, s[2:3], v16, v16, 1.0
	v_rcp_f32_e32 v18, v17
	v_fma_f32 v38, -v17, v18, 1.0
	v_fmac_f32_e32 v18, v38, v18
	v_div_scale_f32 v38, vcc, 1.0, v16, 1.0
	v_mul_f32_e32 v39, v38, v18
	v_fma_f32 v40, -v17, v39, v38
	v_fmac_f32_e32 v39, v40, v18
	v_fma_f32 v17, -v17, v39, v38
	v_div_fmas_f32 v17, v17, v18, v39
	v_div_fixup_f32 v16, v17, v16, 1.0
.LBB15_31:
	s_or_b64 exec, exec, s[0:1]
	v_cmp_o_f32_e32 vcc, v19, v19
	v_mov_b32_e32 v18, 0
	s_and_saveexec_b64 s[0:1], vcc
	s_cbranch_execz .LBB15_33
; %bb.32:
	v_mul_f32_e32 v17, 0xbfb8aa3b, v19
	s_mov_b32 s2, 0xbfb8aa3b
	v_rndne_f32_e32 v18, v17
	v_sub_f32_e32 v38, v17, v18
	v_fma_f32 v17, v19, s2, -v17
	v_fmac_f32_e32 v17, 0xb2a5705f, v19
	v_add_f32_e32 v17, v38, v17
	v_exp_f32_e32 v17, v17
	v_cvt_i32_f32_e32 v18, v18
	s_mov_b32 s2, 0x42ce8ed0
	v_cmp_nlt_f32_e32 vcc, s2, v19
	s_mov_b32 s2, 0xc2b17218
	v_ldexp_f32 v17, v17, v18
	v_cndmask_b32_e32 v17, 0, v17, vcc
	v_mov_b32_e32 v18, 0x7f800000
	v_cmp_ngt_f32_e32 vcc, s2, v19
	v_cndmask_b32_e32 v17, v18, v17, vcc
	v_add_f32_e32 v17, 1.0, v17
	v_div_scale_f32 v18, s[2:3], v17, v17, 1.0
	v_rcp_f32_e32 v19, v18
	v_fma_f32 v38, -v18, v19, 1.0
	v_fmac_f32_e32 v19, v38, v19
	v_div_scale_f32 v38, vcc, 1.0, v17, 1.0
	v_mul_f32_e32 v39, v38, v19
	v_fma_f32 v40, -v18, v39, v38
	v_fmac_f32_e32 v39, v40, v19
	v_fma_f32 v18, -v18, v39, v38
	v_div_fmas_f32 v18, v18, v19, v39
	v_div_fixup_f32 v18, v18, v17, 1.0
.LBB15_33:
	s_or_b64 exec, exec, s[0:1]
	s_waitcnt vmcnt(0)
	v_add_f32_e32 v12, v12, v35
	v_add_f32_e32 v13, v13, v36
	v_max_f32_e32 v38, 0xff7fffff, v12
	s_mov_b32 s2, 0xff7fffff
	v_cmp_ngt_f32_e32 vcc, v13, v38
	v_mov_b32_e32 v17, v38
	v_mov_b32_e32 v19, v13
	s_and_saveexec_b64 s[0:1], vcc
	s_cbranch_execz .LBB15_37
; %bb.34:
	v_cmp_lt_f32_e32 vcc, s2, v13
	v_mov_b32_e32 v17, 0xff7fffff
	s_and_saveexec_b64 s[2:3], vcc
; %bb.35:
	v_mov_b32_e32 v17, v13
; %bb.36:
	s_or_b64 exec, exec, s[2:3]
	v_mov_b32_e32 v19, v38
.LBB15_37:
	s_or_b64 exec, exec, s[0:1]
	v_add_f32_e32 v14, v14, v28
	v_cmp_ngt_f32_e32 vcc, v14, v19
	v_mov_b32_e32 v39, v19
	v_mov_b32_e32 v38, v14
	s_and_saveexec_b64 s[0:1], vcc
	s_cbranch_execz .LBB15_41
; %bb.38:
	v_cmp_gt_f32_e32 vcc, v14, v17
	s_and_saveexec_b64 s[2:3], vcc
; %bb.39:
	v_mov_b32_e32 v17, v14
; %bb.40:
	s_or_b64 exec, exec, s[2:3]
	v_mov_b32_e32 v39, v17
	v_mov_b32_e32 v38, v19
.LBB15_41:
	s_or_b64 exec, exec, s[0:1]
	v_add_f32_e32 v15, v15, v30
	v_cmp_ngt_f32_e32 vcc, v15, v38
	v_mov_b32_e32 v40, v38
	v_mov_b32_e32 v17, v15
	s_and_saveexec_b64 s[0:1], vcc
	s_cbranch_execz .LBB15_45
; %bb.42:
	v_cmp_gt_f32_e32 vcc, v15, v39
	s_and_saveexec_b64 s[2:3], vcc
; %bb.43:
	v_mov_b32_e32 v39, v15
; %bb.44:
	s_or_b64 exec, exec, s[2:3]
	v_mov_b32_e32 v40, v39
	v_mov_b32_e32 v17, v38
.LBB15_45:
	;; [unrolled: 17-line block ×14, first 2 shown]
	s_or_b64 exec, exec, s[0:1]
	v_cmp_lt_i64_e64 s[0:1], s[46:47], 8
	v_lshlrev_b32_e32 v43, 4, v34
	s_and_b64 vcc, exec, s[0:1]
	s_cbranch_vccz .LBB15_96
; %bb.94:
	s_sub_u32 s6, 8, s46
	s_subb_u32 s7, 0, s47
	v_add_f32_e32 v0, v1, v3
	s_mov_b64 s[8:9], 0
	v_mov_b32_e32 v1, 0x7f7fffff
.LBB15_95:                              ; =>This Inner Loop Header: Depth=1
	v_mov_b32_dpp v2, v43 quad_perm:[1,0,3,2] row_mask:0xf bank_mask:0xf
	v_mov_b32_dpp v3, v0 quad_perm:[1,0,3,2] row_mask:0xf bank_mask:0xf
	v_cmp_eq_f32_e64 s[0:1], v0, v3
	v_cmp_lt_i32_e64 s[2:3], v43, v2
	v_cmp_lt_f32_e32 vcc, v0, v3
	s_and_b64 s[0:1], s[2:3], s[0:1]
	s_or_b64 vcc, vcc, s[0:1]
	v_cndmask_b32_e32 v3, v3, v0, vcc
	v_cndmask_b32_e32 v2, v2, v43, vcc
	s_nop 0
	v_mov_b32_dpp v7, v3 quad_perm:[2,3,0,1] row_mask:0xf bank_mask:0xf
	v_mov_b32_dpp v6, v2 quad_perm:[2,3,0,1] row_mask:0xf bank_mask:0xf
	v_cmp_eq_f32_e32 vcc, v3, v7
	v_cmp_lt_i32_e64 s[0:1], v2, v6
	s_and_b64 vcc, vcc, s[0:1]
	v_cmp_lt_f32_e64 s[0:1], v3, v7
	v_cndmask_b32_e32 v17, v7, v3, vcc
	s_or_b64 vcc, s[0:1], vcc
	v_cndmask_b32_e64 v3, v17, v3, s[0:1]
	v_cndmask_b32_e32 v2, v6, v2, vcc
	s_add_u32 s8, s8, 1
	v_mov_b32_dpp v7, v3 row_half_mirror row_mask:0xf bank_mask:0xf
	v_mov_b32_dpp v6, v2 row_half_mirror row_mask:0xf bank_mask:0xf
	v_min_i32_e32 v17, v2, v6
	v_cmp_eq_f32_e32 vcc, v3, v7
	v_cndmask_b32_e32 v6, v6, v17, vcc
	v_cmp_lt_f32_e32 vcc, v3, v7
	v_cndmask_b32_e32 v2, v6, v2, vcc
	v_ashrrev_i32_e32 v3, 31, v2
	v_lshrrev_b32_e32 v3, 28, v3
	v_add_u32_e32 v2, v2, v3
	v_ashrrev_i32_e32 v2, 4, v2
	s_addc_u32 s9, s9, 0
	v_cmp_eq_u32_e32 vcc, v34, v2
	v_pk_mov_b32 v[2:3], s[8:9], s[8:9] op_sel:[0,1]
	v_cndmask_b32_e32 v12, v12, v1, vcc
	v_cndmask_b32_e32 v0, v0, v1, vcc
	v_cmp_le_i64_e32 vcc, s[6:7], v[2:3]
	s_cbranch_vccz .LBB15_95
.LBB15_96:
	s_sub_u32 s36, s48, s50
	s_subb_u32 s37, s49, s51
	s_mov_b64 s[0:1], src_shared_base
	s_cmp_lg_u32 0, -1
	s_cselect_b32 s0, s1, 0
	s_cselect_b32 s1, 0, 0
	s_add_u32 s1, s1, 0xff
	s_addc_u32 s0, s0, 0
	s_and_b32 s1, s1, 0xffffff00
	v_mov_b32_e32 v0, s1
	v_mov_b32_e32 v1, s0
	v_lshlrev_b32_e32 v2, 2, v37
	v_mad_u64_u32 v[6:7], s[0:1], v2, s48, v[0:1]
	s_load_dword s33, s[4:5], 0x48
	v_mov_b32_e32 v0, v7
	v_mad_u64_u32 v[0:1], s[0:1], v2, s49, v[0:1]
	v_cmp_lt_i64_e64 s[0:1], s[36:37], 1
	v_mov_b32_e32 v7, v0
	s_and_b64 vcc, exec, s[0:1]
	v_cmp_eq_u32_e64 s[0:1], 0, v34
	s_cbranch_vccnz .LBB15_107
; %bb.97:
	s_waitcnt lgkmcnt(0)
	v_mad_u64_u32 v[0:1], s[2:3], s33, v32, 0
	s_ashr_i32 s6, s33, 31
	v_mov_b32_e32 v2, v1
	v_mad_u64_u32 v[2:3], s[2:3], s6, v32, v[2:3]
	v_mov_b32_e32 v1, v2
	v_lshlrev_b64 v[0:1], 2, v[0:1]
	v_mov_b32_e32 v2, s43
	v_add_co_u32_e32 v0, vcc, s42, v0
	v_addc_co_u32_e32 v1, vcc, v2, v1, vcc
	v_mul_u32_u24_e32 v37, 16, v34
	s_mov_b64 s[38:39], 0
	v_mov_b32_e32 v17, 0
	s_mov_b32 s52, 0x7f7fffff
	v_mov_b32_e32 v44, 0xff7fffff
	v_pk_mov_b32 v[2:3], v[6:7], v[6:7] op_sel:[0,1]
	s_branch .LBB15_99
.LBB15_98:                              ;   in Loop: Header=BB15_99 Depth=1
	s_or_b64 exec, exec, s[2:3]
	v_add_co_u32_e32 v0, vcc, 4, v0
	s_add_u32 s38, s38, 1
	v_addc_co_u32_e32 v1, vcc, 0, v1, vcc
	s_addc_u32 s39, s39, 0
	v_add_co_u32_e32 v2, vcc, 4, v2
	v_addc_co_u32_e32 v3, vcc, 0, v3, vcc
	v_pk_mov_b32 v[46:47], s[38:39], s[38:39] op_sel:[0,1]
	v_cmp_le_i64_e32 vcc, s[36:37], v[46:47]
	s_cbranch_vccnz .LBB15_108
.LBB15_99:                              ; =>This Inner Loop Header: Depth=1
	v_cmp_neq_f32_e32 vcc, s52, v12
	v_mov_b32_e32 v45, 0xff7fffff
	v_mov_b32_e32 v46, v43
	s_and_saveexec_b64 s[2:3], vcc
	s_cbranch_execz .LBB15_101
; %bb.100:                              ;   in Loop: Header=BB15_99 Depth=1
	v_cmp_gt_f32_e32 vcc, v13, v12
	v_cndmask_b32_e32 v45, v12, v13, vcc
	v_cndmask_b32_e64 v46, 0, 1, vcc
	v_cmp_gt_f32_e32 vcc, v14, v45
	v_cndmask_b32_e32 v45, v45, v14, vcc
	v_cndmask_b32_e64 v46, v46, 2, vcc
	;; [unrolled: 3-line block ×14, first 2 shown]
	v_cmp_gt_f32_e32 vcc, v42, v45
	v_cndmask_b32_e64 v46, v46, 15, vcc
	v_cndmask_b32_e32 v45, v45, v42, vcc
	v_or_b32_e32 v46, v46, v43
.LBB15_101:                             ;   in Loop: Header=BB15_99 Depth=1
	s_or_b64 exec, exec, s[2:3]
	s_nop 0
	v_mov_b32_dpp v47, v46 quad_perm:[1,0,3,2] row_mask:0xf bank_mask:0xf
	v_mov_b32_dpp v48, v45 quad_perm:[1,0,3,2] row_mask:0xf bank_mask:0xf
	v_cmp_eq_f32_e64 s[2:3], v45, v48
	v_cmp_lt_i32_e64 s[6:7], v46, v47
	v_cmp_gt_f32_e32 vcc, v45, v48
	s_and_b64 s[2:3], s[2:3], s[6:7]
	s_or_b64 vcc, vcc, s[2:3]
	v_cndmask_b32_e32 v45, v48, v45, vcc
	v_cndmask_b32_e32 v46, v47, v46, vcc
	s_nop 0
	v_mov_b32_dpp v48, v45 quad_perm:[2,3,0,1] row_mask:0xf bank_mask:0xf
	v_mov_b32_dpp v47, v46 quad_perm:[2,3,0,1] row_mask:0xf bank_mask:0xf
	v_cmp_eq_f32_e32 vcc, v45, v48
	v_cmp_lt_i32_e64 s[2:3], v46, v47
	s_and_b64 vcc, vcc, s[2:3]
	v_cmp_gt_f32_e64 s[2:3], v45, v48
	v_cndmask_b32_e32 v49, v48, v45, vcc
	s_or_b64 vcc, s[2:3], vcc
	v_cndmask_b32_e64 v45, v49, v45, s[2:3]
	v_cndmask_b32_e32 v46, v47, v46, vcc
	s_nop 0
	v_mov_b32_dpp v48, v45 row_half_mirror row_mask:0xf bank_mask:0xf
	v_mov_b32_dpp v47, v46 row_half_mirror row_mask:0xf bank_mask:0xf
	v_min_i32_e32 v49, v46, v47
	v_cmp_eq_f32_e32 vcc, v45, v48
	v_cndmask_b32_e32 v47, v47, v49, vcc
	v_cmp_gt_f32_e32 vcc, v45, v48
	v_cndmask_b32_e32 v45, v47, v46, vcc
	v_ashrrev_i32_e32 v46, 31, v45
	v_lshrrev_b32_e32 v46, 28, v46
	v_add_u32_e32 v46, v45, v46
	v_ashrrev_i32_e32 v46, 4, v46
	v_cmp_eq_u32_e32 vcc, v34, v46
	s_and_saveexec_b64 s[44:45], vcc
	s_cbranch_execz .LBB15_105
; %bb.102:                              ;   in Loop: Header=BB15_99 Depth=1
	v_sub_u32_e32 v46, v45, v37
	v_cmp_eq_u32_e32 vcc, 1, v46
	v_cmp_eq_u32_e64 s[2:3], 2, v46
	v_cmp_eq_u32_e64 s[6:7], 3, v46
	;; [unrolled: 1-line block ×14, first 2 shown]
	v_cmp_gt_u32_e64 s[34:35], 16, v46
	s_and_saveexec_b64 s[46:47], s[34:35]
	s_cbranch_execz .LBB15_104
; %bb.103:                              ;   in Loop: Header=BB15_99 Depth=1
	v_cndmask_b32_e32 v47, v35, v36, vcc
	v_cndmask_b32_e64 v47, v47, v28, s[2:3]
	v_cndmask_b32_e64 v47, v47, v30, s[6:7]
	v_cndmask_b32_e64 v47, v47, v29, s[8:9]
	v_cndmask_b32_e64 v47, v47, v31, s[10:11]
	v_cndmask_b32_e64 v47, v47, v24, s[12:13]
	v_cndmask_b32_e64 v47, v47, v26, s[14:15]
	v_cndmask_b32_e64 v47, v47, v25, s[16:17]
	v_cndmask_b32_e64 v47, v47, v27, s[18:19]
	v_cndmask_b32_e64 v47, v47, v20, s[20:21]
	v_cndmask_b32_e64 v47, v47, v22, s[22:23]
	v_cndmask_b32_e64 v47, v47, v21, s[24:25]
	v_cndmask_b32_e64 v47, v47, v23, s[26:27]
	v_cndmask_b32_e64 v47, v47, v16, s[28:29]
	v_cndmask_b32_e64 v47, v47, v18, s[30:31]
	flat_store_dword v[2:3], v47
.LBB15_104:                             ;   in Loop: Header=BB15_99 Depth=1
	s_or_b64 exec, exec, s[46:47]
	v_cmp_ne_u32_e64 s[34:35], 0, v46
	v_cndmask_b32_e64 v12, v44, v12, s[34:35]
	v_cndmask_b32_e32 v13, v13, v44, vcc
	v_cndmask_b32_e64 v14, v14, v44, s[2:3]
	v_cndmask_b32_e64 v15, v15, v44, s[6:7]
	v_cndmask_b32_e64 v8, v8, v44, s[8:9]
	v_cndmask_b32_e64 v9, v9, v44, s[10:11]
	v_cndmask_b32_e64 v10, v10, v44, s[12:13]
	v_cndmask_b32_e64 v11, v11, v44, s[14:15]
	v_cndmask_b32_e64 v4, v4, v44, s[16:17]
	v_cndmask_b32_e64 v5, v5, v44, s[18:19]
	v_cndmask_b32_e64 v19, v19, v44, s[20:21]
	v_cndmask_b32_e64 v38, v38, v44, s[22:23]
	v_cndmask_b32_e64 v39, v39, v44, s[24:25]
	v_cndmask_b32_e64 v40, v40, v44, s[26:27]
	v_cndmask_b32_e64 v41, v41, v44, s[28:29]
	v_cndmask_b32_e64 v42, v42, v44, s[30:31]
	global_store_dword v[0:1], v45, off
.LBB15_105:                             ;   in Loop: Header=BB15_99 Depth=1
	s_or_b64 exec, exec, s[44:45]
	s_waitcnt lgkmcnt(0)
	s_barrier
	s_and_saveexec_b64 s[2:3], s[0:1]
	s_cbranch_execz .LBB15_98
; %bb.106:                              ;   in Loop: Header=BB15_99 Depth=1
	flat_load_dword v45, v[2:3]
	s_waitcnt vmcnt(0) lgkmcnt(0)
	v_add_f32_e32 v17, v17, v45
	s_branch .LBB15_98
.LBB15_107:
	v_mov_b32_e32 v17, 0
.LBB15_108:
	v_cmp_eq_u32_e64 s[0:1], 0, v34
	v_cmp_gt_i64_e64 s[2:3], s[50:51], 0
	s_and_b64 s[6:7], s[0:1], s[2:3]
	s_and_saveexec_b64 s[2:3], s[6:7]
	s_cbranch_execz .LBB15_121
; %bb.109:
	v_cmp_le_u64_e32 vcc, s[50:51], v[32:33]
	v_pk_mov_b32 v[0:1], v[32:33], v[32:33] op_sel:[0,1]
	s_and_saveexec_b64 s[6:7], vcc
	s_cbranch_execz .LBB15_111
; %bb.110:
	v_cvt_f32_u32_e32 v0, s50
	s_sub_i32 s8, 0, s50
	v_rcp_iflag_f32_e32 v0, v0
	v_mul_f32_e32 v0, 0x4f7ffffe, v0
	v_cvt_u32_f32_e32 v0, v0
	v_mul_lo_u32 v1, s8, v0
	v_mul_hi_u32 v1, v0, v1
	v_add_u32_e32 v0, v0, v1
	v_mul_hi_u32 v0, v32, v0
	v_mul_lo_u32 v0, v0, s50
	v_sub_u32_e32 v0, v32, v0
	v_subrev_u32_e32 v1, s50, v0
	v_cmp_le_u32_e32 vcc, s50, v0
	v_cndmask_b32_e32 v0, v0, v1, vcc
	v_subrev_u32_e32 v1, s50, v0
	v_cmp_le_u32_e32 vcc, s50, v0
	v_cndmask_b32_e32 v0, v0, v1, vcc
	v_mov_b32_e32 v1, 0
.LBB15_111:
	s_or_b64 exec, exec, s[6:7]
	s_load_dwordx2 s[4:5], s[4:5], 0x40
	v_cvt_f64_f32_e32 v[8:9], v17
	v_pk_mov_b32 v[2:3], s[36:37], s[36:37] op_sel:[0,1]
	s_waitcnt lgkmcnt(0)
	v_mad_u64_u32 v[10:11], s[6:7], s33, v32, v[2:3]
	v_div_scale_f64 v[12:13], s[6:7], s[4:5], s[4:5], v[8:9]
	v_rcp_f64_e32 v[14:15], v[12:13]
	s_ashr_i32 s8, s33, 31
	v_mov_b32_e32 v2, v11
	v_mad_u64_u32 v[2:3], s[6:7], s8, v32, v[2:3]
	v_mov_b32_e32 v11, v2
	v_lshlrev_b64 v[2:3], 2, v[10:11]
	v_fma_f64 v[18:19], -v[12:13], v[14:15], 1.0
	v_mov_b32_e32 v5, s43
	v_add_co_u32_e32 v4, vcc, s42, v2
	v_fmac_f64_e32 v[14:15], v[14:15], v[18:19]
	v_addc_co_u32_e32 v5, vcc, v5, v3, vcc
	v_fma_f64 v[18:19], -v[12:13], v[14:15], 1.0
	v_fmac_f64_e32 v[14:15], v[14:15], v[18:19]
	v_div_scale_f64 v[18:19], vcc, v[8:9], s[4:5], v[8:9]
	v_mul_f64 v[20:21], v[18:19], v[14:15]
	v_fma_f64 v[12:13], -v[12:13], v[20:21], v[18:19]
	v_add_u32_e32 v16, 0x80, v0
	s_nop 0
	v_div_fmas_f64 v[12:13], v[12:13], v[14:15], v[20:21]
	v_div_fixup_f64 v[8:9], v[12:13], s[4:5], v[8:9]
	v_cvt_f32_f64_e32 v8, v[8:9]
	v_mov_b32_e32 v9, s41
	v_add_co_u32_e32 v14, vcc, s40, v2
	v_addc_co_u32_e32 v15, vcc, v9, v3, vcc
	v_cmp_lt_u64_e64 s[4:5], s[50:51], 2
	s_and_b64 vcc, exec, s[4:5]
	global_store_dword v[4:5], v16, off
	global_store_dword v[14:15], v8, off
	s_cbranch_vccnz .LBB15_121
; %bb.112:
	s_cmp_eq_u64 s[50:51], 2
	s_cbranch_scc1 .LBB15_117
; %bb.113:
	v_add_co_u32_e32 v2, vcc, 1, v0
	v_addc_co_u32_e32 v3, vcc, 0, v1, vcc
	s_add_u32 s4, s50, -1
	v_add_co_u32_e32 v12, vcc, 4, v4
	s_addc_u32 s5, s51, -1
	v_addc_co_u32_e32 v13, vcc, 0, v5, vcc
	s_and_b32 s6, s4, -2
	s_mov_b32 s7, s5
	v_add_co_u32_e32 v14, vcc, 4, v14
	v_pk_mov_b32 v[4:5], v[2:3], v[2:3] op_sel:[0,1]
	v_mov_b32_e32 v9, v8
	v_addc_co_u32_e32 v15, vcc, 0, v15, vcc
	s_mov_b64 s[8:9], s[6:7]
	v_pk_mov_b32 v[2:3], v[0:1], v[0:1] op_sel:[0,1]
.LBB15_114:                             ; =>This Inner Loop Header: Depth=1
	v_add_u32_e32 v19, 0x81, v4
	v_add_co_u32_e32 v4, vcc, 2, v4
	v_addc_co_u32_e32 v5, vcc, 0, v5, vcc
	v_add_u32_e32 v18, 0x81, v2
	v_add_co_u32_e32 v2, vcc, 2, v2
	v_addc_co_u32_e32 v3, vcc, 0, v3, vcc
	global_store_dwordx2 v[14:15], v[8:9], off
	v_add_co_u32_e32 v14, vcc, 8, v14
	v_addc_co_u32_e32 v15, vcc, 0, v15, vcc
	s_add_u32 s8, s8, -2
	global_store_dwordx2 v[12:13], v[18:19], off
	s_addc_u32 s9, s9, -1
	v_add_co_u32_e32 v12, vcc, 8, v12
	s_cmp_lg_u64 s[8:9], 0
	v_addc_co_u32_e32 v13, vcc, 0, v13, vcc
	s_cbranch_scc1 .LBB15_114
; %bb.115:
	s_cmp_eq_u64 s[4:5], s[6:7]
	s_cbranch_scc1 .LBB15_118
; %bb.116:
	v_mov_b32_e32 v1, s7
	v_add_co_u32_e32 v10, vcc, s6, v10
	s_or_b32 s4, s4, 1
	v_add_u32_e32 v0, s6, v0
	v_addc_co_u32_e32 v11, vcc, v11, v1, vcc
	s_cbranch_execnz .LBB15_119
	s_branch .LBB15_121
.LBB15_117:
	s_mov_b32 s4, 1
	s_cbranch_execnz .LBB15_119
	s_branch .LBB15_121
.LBB15_118:
	s_mov_b32 s4, 1
                                        ; implicit-def: $vgpr10_vgpr11
                                        ; implicit-def: $vgpr0
	s_branch .LBB15_121
.LBB15_119:
	v_add_u32_e32 v9, 0x81, v0
	v_lshlrev_b64 v[0:1], 2, v[10:11]
	v_add_co_u32_e32 v2, vcc, 4, v0
	v_addc_co_u32_e32 v3, vcc, 0, v1, vcc
	v_mov_b32_e32 v1, s41
	v_add_co_u32_e32 v0, vcc, s40, v2
	v_addc_co_u32_e32 v1, vcc, v1, v3, vcc
	v_mov_b32_e32 v4, s43
	v_add_co_u32_e32 v2, vcc, s42, v2
	s_mov_b32 s5, 0
	v_addc_co_u32_e32 v3, vcc, v4, v3, vcc
	v_pk_mov_b32 v[4:5], s[50:51], s[50:51] op_sel:[0,1]
.LBB15_120:                             ; =>This Inner Loop Header: Depth=1
	global_store_dword v[2:3], v9, off
	global_store_dword v[0:1], v8, off
	v_add_co_u32_e32 v0, vcc, 4, v0
	v_addc_co_u32_e32 v1, vcc, 0, v1, vcc
	s_add_u32 s4, s4, 1
	v_add_co_u32_e32 v2, vcc, 4, v2
	v_addc_co_u32_e32 v3, vcc, 0, v3, vcc
	s_addc_u32 s5, s5, 0
	v_cmp_lt_u64_e32 vcc, s[4:5], v[4:5]
	v_add_u32_e32 v9, 1, v9
	s_cbranch_vccnz .LBB15_120
.LBB15_121:
	s_or_b64 exec, exec, s[2:3]
	v_cmp_gt_i64_e64 s[4:5], s[48:49], 0
	s_mov_b64 s[2:3], 0
	s_and_b64 s[0:1], s[0:1], s[4:5]
	s_waitcnt lgkmcnt(0)
	s_barrier
	s_and_b64 exec, exec, s[0:1]
	s_cbranch_execz .LBB15_128
; %bb.122:
	v_mad_u64_u32 v[0:1], s[0:1], s33, v32, 0
	s_ashr_i32 s4, s33, 31
	v_mov_b32_e32 v2, v1
	v_mad_u64_u32 v[2:3], s[0:1], s4, v32, v[2:3]
	v_mov_b32_e32 v1, v2
	v_lshlrev_b64 v[0:1], 2, v[0:1]
	v_mov_b32_e32 v2, s41
	v_add_co_u32_e32 v4, vcc, s40, v0
	v_addc_co_u32_e32 v5, vcc, v2, v1, vcc
	v_cmp_lt_u64_e64 s[0:1], s[48:49], 8
	s_and_b64 vcc, exec, s[0:1]
	s_cbranch_vccnz .LBB15_125
; %bb.123:
	s_and_b32 s3, s49, 0x7fffffff
	s_and_b32 s2, s48, -8
	s_mov_b64 s[0:1], 0
	s_mov_b64 s[4:5], s[2:3]
.LBB15_124:                             ; =>This Inner Loop Header: Depth=1
	v_mov_b32_e32 v1, s1
	v_add_co_u32_e32 v2, vcc, s0, v6
	v_addc_co_u32_e32 v3, vcc, v7, v1, vcc
	flat_load_dword v8, v[2:3]
	v_add_co_u32_e32 v0, vcc, s0, v4
	v_addc_co_u32_e32 v1, vcc, v5, v1, vcc
	s_add_u32 s0, s0, 32
	s_addc_u32 s1, s1, 0
	s_add_u32 s4, s4, -8
	s_addc_u32 s5, s5, -1
	s_cmp_lg_u64 s[4:5], 0
	s_waitcnt vmcnt(0) lgkmcnt(0)
	v_div_scale_f32 v9, s[6:7], v17, v17, v8
	v_rcp_f32_e32 v11, v9
	v_div_scale_f32 v10, vcc, v8, v17, v8
	v_fma_f32 v12, -v9, v11, 1.0
	v_fmac_f32_e32 v11, v12, v11
	v_mul_f32_e32 v12, v10, v11
	v_fma_f32 v13, -v9, v12, v10
	v_fmac_f32_e32 v12, v13, v11
	v_fma_f32 v9, -v9, v12, v10
	v_div_fmas_f32 v9, v9, v11, v12
	v_div_fixup_f32 v8, v9, v17, v8
	global_store_dword v[0:1], v8, off
	flat_load_dword v8, v[2:3] offset:4
	s_waitcnt vmcnt(0) lgkmcnt(0)
	v_div_scale_f32 v9, s[6:7], v17, v17, v8
	v_rcp_f32_e32 v11, v9
	v_div_scale_f32 v10, vcc, v8, v17, v8
	v_fma_f32 v12, -v9, v11, 1.0
	v_fmac_f32_e32 v11, v12, v11
	v_mul_f32_e32 v12, v10, v11
	v_fma_f32 v13, -v9, v12, v10
	v_fmac_f32_e32 v12, v13, v11
	v_fma_f32 v9, -v9, v12, v10
	v_div_fmas_f32 v9, v9, v11, v12
	v_div_fixup_f32 v8, v9, v17, v8
	global_store_dword v[0:1], v8, off offset:4
	flat_load_dword v8, v[2:3] offset:8
	s_waitcnt vmcnt(0) lgkmcnt(0)
	v_div_scale_f32 v9, s[6:7], v17, v17, v8
	v_rcp_f32_e32 v11, v9
	v_div_scale_f32 v10, vcc, v8, v17, v8
	v_fma_f32 v12, -v9, v11, 1.0
	v_fmac_f32_e32 v11, v12, v11
	v_mul_f32_e32 v12, v10, v11
	v_fma_f32 v13, -v9, v12, v10
	v_fmac_f32_e32 v12, v13, v11
	v_fma_f32 v9, -v9, v12, v10
	v_div_fmas_f32 v9, v9, v11, v12
	v_div_fixup_f32 v8, v9, v17, v8
	global_store_dword v[0:1], v8, off offset:8
	;; [unrolled: 14-line block ×7, first 2 shown]
	s_cbranch_scc1 .LBB15_124
.LBB15_125:
	s_and_b32 s0, s48, 7
	s_mov_b32 s1, 0
	s_cmp_eq_u64 s[0:1], 0
	s_cbranch_scc1 .LBB15_128
; %bb.126:
	s_mov_b64 s[4:5], s[0:1]
.LBB15_127:                             ; =>This Inner Loop Header: Depth=1
	s_lshl_b64 s[6:7], s[2:3], 2
	v_mov_b32_e32 v2, s7
	v_add_co_u32_e32 v0, vcc, s6, v6
	v_addc_co_u32_e32 v1, vcc, v7, v2, vcc
	flat_load_dword v3, v[0:1]
	v_add_co_u32_e32 v0, vcc, s6, v4
	v_addc_co_u32_e32 v1, vcc, v5, v2, vcc
	s_add_i32 s0, s2, 1
	s_add_u32 s4, s4, -1
	s_addc_u32 s5, s5, -1
	s_mov_b64 s[2:3], s[0:1]
	s_cmp_lg_u64 s[4:5], 0
	s_waitcnt vmcnt(0) lgkmcnt(0)
	v_div_scale_f32 v2, s[6:7], v17, v17, v3
	v_rcp_f32_e32 v8, v2
	v_div_scale_f32 v9, vcc, v3, v17, v3
	v_fma_f32 v10, -v2, v8, 1.0
	v_fmac_f32_e32 v8, v10, v8
	v_mul_f32_e32 v10, v9, v8
	v_fma_f32 v11, -v2, v10, v9
	v_fmac_f32_e32 v10, v11, v8
	v_fma_f32 v2, -v2, v10, v9
	v_div_fmas_f32 v2, v2, v8, v10
	v_div_fixup_f32 v2, v2, v17, v3
	global_store_dword v[0:1], v2, off
	s_cbranch_scc1 .LBB15_127
.LBB15_128:
	s_endpgm
	.section	.rodata,"a",@progbits
	.p2align	6, 0x0
	.amdhsa_kernel _Z21moe_fused_gate_kernelIfLi16ELi128ELi8ELi1EEvPvS0_PfPilllldi
		.amdhsa_group_segment_fixed_size 0
		.amdhsa_private_segment_fixed_size 0
		.amdhsa_kernarg_size 76
		.amdhsa_user_sgpr_count 6
		.amdhsa_user_sgpr_private_segment_buffer 1
		.amdhsa_user_sgpr_dispatch_ptr 0
		.amdhsa_user_sgpr_queue_ptr 0
		.amdhsa_user_sgpr_kernarg_segment_ptr 1
		.amdhsa_user_sgpr_dispatch_id 0
		.amdhsa_user_sgpr_flat_scratch_init 0
		.amdhsa_user_sgpr_kernarg_preload_length 0
		.amdhsa_user_sgpr_kernarg_preload_offset 0
		.amdhsa_user_sgpr_private_segment_size 0
		.amdhsa_uses_dynamic_stack 0
		.amdhsa_system_sgpr_private_segment_wavefront_offset 0
		.amdhsa_system_sgpr_workgroup_id_x 1
		.amdhsa_system_sgpr_workgroup_id_y 0
		.amdhsa_system_sgpr_workgroup_id_z 0
		.amdhsa_system_sgpr_workgroup_info 0
		.amdhsa_system_vgpr_workitem_id 1
		.amdhsa_next_free_vgpr 50
		.amdhsa_next_free_sgpr 53
		.amdhsa_accum_offset 52
		.amdhsa_reserve_vcc 1
		.amdhsa_reserve_flat_scratch 0
		.amdhsa_float_round_mode_32 0
		.amdhsa_float_round_mode_16_64 0
		.amdhsa_float_denorm_mode_32 3
		.amdhsa_float_denorm_mode_16_64 3
		.amdhsa_dx10_clamp 1
		.amdhsa_ieee_mode 1
		.amdhsa_fp16_overflow 0
		.amdhsa_tg_split 0
		.amdhsa_exception_fp_ieee_invalid_op 0
		.amdhsa_exception_fp_denorm_src 0
		.amdhsa_exception_fp_ieee_div_zero 0
		.amdhsa_exception_fp_ieee_overflow 0
		.amdhsa_exception_fp_ieee_underflow 0
		.amdhsa_exception_fp_ieee_inexact 0
		.amdhsa_exception_int_div_zero 0
	.end_amdhsa_kernel
	.section	.text._Z21moe_fused_gate_kernelIfLi16ELi128ELi8ELi1EEvPvS0_PfPilllldi,"axG",@progbits,_Z21moe_fused_gate_kernelIfLi16ELi128ELi8ELi1EEvPvS0_PfPilllldi,comdat
.Lfunc_end15:
	.size	_Z21moe_fused_gate_kernelIfLi16ELi128ELi8ELi1EEvPvS0_PfPilllldi, .Lfunc_end15-_Z21moe_fused_gate_kernelIfLi16ELi128ELi8ELi1EEvPvS0_PfPilllldi
                                        ; -- End function
	.section	.AMDGPU.csdata,"",@progbits
; Kernel info:
; codeLenInByte = 7248
; NumSgprs: 57
; NumVgprs: 50
; NumAgprs: 0
; TotalNumVgprs: 50
; ScratchSize: 0
; MemoryBound: 1
; FloatMode: 240
; IeeeMode: 1
; LDSByteSize: 0 bytes/workgroup (compile time only)
; SGPRBlocks: 7
; VGPRBlocks: 6
; NumSGPRsForWavesPerEU: 57
; NumVGPRsForWavesPerEU: 50
; AccumOffset: 52
; Occupancy: 8
; WaveLimiterHint : 0
; COMPUTE_PGM_RSRC2:SCRATCH_EN: 0
; COMPUTE_PGM_RSRC2:USER_SGPR: 6
; COMPUTE_PGM_RSRC2:TRAP_HANDLER: 0
; COMPUTE_PGM_RSRC2:TGID_X_EN: 1
; COMPUTE_PGM_RSRC2:TGID_Y_EN: 0
; COMPUTE_PGM_RSRC2:TGID_Z_EN: 0
; COMPUTE_PGM_RSRC2:TIDIG_COMP_CNT: 1
; COMPUTE_PGM_RSRC3_GFX90A:ACCUM_OFFSET: 12
; COMPUTE_PGM_RSRC3_GFX90A:TG_SPLIT: 0
	.section	.text._Z21moe_fused_gate_kernelItLi12ELi96ELi8ELi1EEvPvS0_PfPilllldi,"axG",@progbits,_Z21moe_fused_gate_kernelItLi12ELi96ELi8ELi1EEvPvS0_PfPilllldi,comdat
	.protected	_Z21moe_fused_gate_kernelItLi12ELi96ELi8ELi1EEvPvS0_PfPilllldi ; -- Begin function _Z21moe_fused_gate_kernelItLi12ELi96ELi8ELi1EEvPvS0_PfPilllldi
	.globl	_Z21moe_fused_gate_kernelItLi12ELi96ELi8ELi1EEvPvS0_PfPilllldi
	.p2align	8
	.type	_Z21moe_fused_gate_kernelItLi12ELi96ELi8ELi1EEvPvS0_PfPilllldi,@function
_Z21moe_fused_gate_kernelItLi12ELi96ELi8ELi1EEvPvS0_PfPilllldi: ; @_Z21moe_fused_gate_kernelItLi12ELi96ELi8ELi1EEvPvS0_PfPilllldi
; %bb.0:
	s_load_dwordx16 s[36:51], s[4:5], 0x0
	v_and_b32_e32 v1, 0x3ff, v0
	v_bfe_u32 v0, v0, 10, 10
	v_add_u32_e32 v0, s6, v0
	v_lshrrev_b32_e32 v24, 3, v1
	v_mov_b32_e32 v30, 0
	v_lshl_add_u32 v8, v0, 3, v24
	v_mov_b32_e32 v9, v30
	s_waitcnt lgkmcnt(0)
	v_cmp_gt_i64_e32 vcc, s[44:45], v[8:9]
	s_and_saveexec_b64 s[0:1], vcc
	s_cbranch_execz .LBB16_104
; %bb.1:
	v_and_b32_e32 v28, 7, v1
	v_mov_b32_e32 v2, s36
	v_mov_b32_e32 v3, s37
	s_movk_i32 s0, 0xc0
	v_mul_u32_u24_e32 v29, 12, v28
	v_mad_u64_u32 v[2:3], s[0:1], v8, s0, v[2:3]
	v_lshlrev_b32_e32 v12, 1, v29
	v_add_co_u32_e32 v10, vcc, v2, v12
	v_addc_co_u32_e32 v11, vcc, 0, v3, vcc
	global_load_dwordx2 v[18:19], v[10:11], off offset:16
	global_load_dwordx4 v[4:7], v[10:11], off
	global_load_dwordx2 v[14:15], v12, s[38:39] offset:16
	global_load_dwordx4 v[0:3], v12, s[38:39]
	s_waitcnt vmcnt(2)
	v_lshlrev_b32_e32 v10, 16, v4
	v_cmp_o_f32_e32 vcc, v10, v10
	s_and_saveexec_b64 s[0:1], vcc
	s_cbranch_execz .LBB16_3
; %bb.2:
	v_mul_f32_e32 v11, 0xbfb8aa3b, v10
	s_mov_b32 s2, 0xbfb8aa3b
	v_rndne_f32_e32 v12, v11
	v_sub_f32_e32 v13, v11, v12
	v_fma_f32 v11, v10, s2, -v11
	v_fmac_f32_e32 v11, 0xb2a5705f, v10
	v_add_f32_e32 v11, v13, v11
	v_exp_f32_e32 v11, v11
	v_cvt_i32_f32_e32 v12, v12
	s_mov_b32 s2, 0x42ce8ed0
	v_cmp_nlt_f32_e32 vcc, s2, v10
	s_mov_b32 s2, 0xc2b17218
	v_ldexp_f32 v11, v11, v12
	v_cndmask_b32_e32 v11, 0, v11, vcc
	v_mov_b32_e32 v12, 0x7f800000
	v_cmp_ngt_f32_e32 vcc, s2, v10
	v_cndmask_b32_e32 v10, v12, v11, vcc
	v_add_f32_e32 v10, 1.0, v10
	v_div_scale_f32 v11, s[2:3], v10, v10, 1.0
	v_rcp_f32_e32 v12, v11
	v_fma_f32 v13, -v11, v12, 1.0
	v_fmac_f32_e32 v12, v13, v12
	v_div_scale_f32 v13, vcc, 1.0, v10, 1.0
	v_mul_f32_e32 v16, v13, v12
	v_fma_f32 v17, -v11, v16, v13
	v_fmac_f32_e32 v16, v17, v12
	v_fma_f32 v11, -v11, v16, v13
	v_div_fmas_f32 v11, v11, v12, v16
	v_div_fixup_f32 v30, v11, v10, 1.0
.LBB16_3:
	s_or_b64 exec, exec, s[0:1]
	v_and_b32_e32 v4, 0xffff0000, v4
	v_cmp_o_f32_e32 vcc, v4, v4
	v_mov_b32_e32 v11, 0
	v_mov_b32_e32 v10, 0
	s_and_saveexec_b64 s[0:1], vcc
	s_cbranch_execz .LBB16_5
; %bb.4:
	v_mul_f32_e32 v10, 0xbfb8aa3b, v4
	s_mov_b32 s2, 0xbfb8aa3b
	v_rndne_f32_e32 v12, v10
	v_sub_f32_e32 v13, v10, v12
	v_fma_f32 v10, v4, s2, -v10
	v_fmac_f32_e32 v10, 0xb2a5705f, v4
	v_add_f32_e32 v10, v13, v10
	v_exp_f32_e32 v10, v10
	v_cvt_i32_f32_e32 v12, v12
	s_mov_b32 s2, 0x42ce8ed0
	v_cmp_nlt_f32_e32 vcc, s2, v4
	s_mov_b32 s2, 0xc2b17218
	v_ldexp_f32 v10, v10, v12
	v_cndmask_b32_e32 v10, 0, v10, vcc
	v_mov_b32_e32 v12, 0x7f800000
	v_cmp_ngt_f32_e32 vcc, s2, v4
	v_cndmask_b32_e32 v4, v12, v10, vcc
	v_add_f32_e32 v4, 1.0, v4
	v_div_scale_f32 v10, s[2:3], v4, v4, 1.0
	v_rcp_f32_e32 v12, v10
	v_fma_f32 v13, -v10, v12, 1.0
	v_fmac_f32_e32 v12, v13, v12
	v_div_scale_f32 v13, vcc, 1.0, v4, 1.0
	v_mul_f32_e32 v16, v13, v12
	v_fma_f32 v17, -v10, v16, v13
	v_fmac_f32_e32 v16, v17, v12
	v_fma_f32 v10, -v10, v16, v13
	v_div_fmas_f32 v10, v10, v12, v16
	v_div_fixup_f32 v10, v10, v4, 1.0
.LBB16_5:
	s_or_b64 exec, exec, s[0:1]
	v_lshlrev_b32_e32 v4, 16, v5
	v_cmp_o_f32_e32 vcc, v4, v4
	s_and_saveexec_b64 s[0:1], vcc
	s_cbranch_execz .LBB16_7
; %bb.6:
	v_mul_f32_e32 v11, 0xbfb8aa3b, v4
	s_mov_b32 s2, 0xbfb8aa3b
	v_rndne_f32_e32 v12, v11
	v_sub_f32_e32 v13, v11, v12
	v_fma_f32 v11, v4, s2, -v11
	v_fmac_f32_e32 v11, 0xb2a5705f, v4
	v_add_f32_e32 v11, v13, v11
	v_exp_f32_e32 v11, v11
	v_cvt_i32_f32_e32 v12, v12
	s_mov_b32 s2, 0x42ce8ed0
	v_cmp_nlt_f32_e32 vcc, s2, v4
	s_mov_b32 s2, 0xc2b17218
	v_ldexp_f32 v11, v11, v12
	v_cndmask_b32_e32 v11, 0, v11, vcc
	v_mov_b32_e32 v12, 0x7f800000
	v_cmp_ngt_f32_e32 vcc, s2, v4
	v_cndmask_b32_e32 v4, v12, v11, vcc
	v_add_f32_e32 v4, 1.0, v4
	v_div_scale_f32 v11, s[2:3], v4, v4, 1.0
	v_rcp_f32_e32 v12, v11
	v_fma_f32 v13, -v11, v12, 1.0
	v_fmac_f32_e32 v12, v13, v12
	v_div_scale_f32 v13, vcc, 1.0, v4, 1.0
	v_mul_f32_e32 v16, v13, v12
	v_fma_f32 v17, -v11, v16, v13
	v_fmac_f32_e32 v16, v17, v12
	v_fma_f32 v11, -v11, v16, v13
	v_div_fmas_f32 v11, v11, v12, v16
	v_div_fixup_f32 v11, v11, v4, 1.0
.LBB16_7:
	s_or_b64 exec, exec, s[0:1]
	v_and_b32_e32 v12, 0xffff0000, v5
	v_cmp_o_f32_e32 vcc, v12, v12
	v_mov_b32_e32 v5, 0
	v_mov_b32_e32 v4, 0
	s_and_saveexec_b64 s[0:1], vcc
	s_cbranch_execz .LBB16_9
; %bb.8:
	v_mul_f32_e32 v4, 0xbfb8aa3b, v12
	s_mov_b32 s2, 0xbfb8aa3b
	v_rndne_f32_e32 v13, v4
	v_sub_f32_e32 v16, v4, v13
	v_fma_f32 v4, v12, s2, -v4
	v_fmac_f32_e32 v4, 0xb2a5705f, v12
	v_add_f32_e32 v4, v16, v4
	v_exp_f32_e32 v4, v4
	v_cvt_i32_f32_e32 v13, v13
	s_mov_b32 s2, 0x42ce8ed0
	v_cmp_nlt_f32_e32 vcc, s2, v12
	s_mov_b32 s2, 0xc2b17218
	v_ldexp_f32 v4, v4, v13
	v_cndmask_b32_e32 v4, 0, v4, vcc
	v_mov_b32_e32 v13, 0x7f800000
	v_cmp_ngt_f32_e32 vcc, s2, v12
	v_cndmask_b32_e32 v4, v13, v4, vcc
	v_add_f32_e32 v4, 1.0, v4
	v_div_scale_f32 v12, s[2:3], v4, v4, 1.0
	v_rcp_f32_e32 v13, v12
	v_fma_f32 v16, -v12, v13, 1.0
	v_fmac_f32_e32 v13, v16, v13
	v_div_scale_f32 v16, vcc, 1.0, v4, 1.0
	v_mul_f32_e32 v17, v16, v13
	v_fma_f32 v20, -v12, v17, v16
	v_fmac_f32_e32 v17, v20, v13
	v_fma_f32 v12, -v12, v17, v16
	v_div_fmas_f32 v12, v12, v13, v17
	v_div_fixup_f32 v4, v12, v4, 1.0
.LBB16_9:
	s_or_b64 exec, exec, s[0:1]
	v_lshlrev_b32_e32 v12, 16, v6
	v_cmp_o_f32_e32 vcc, v12, v12
	s_and_saveexec_b64 s[0:1], vcc
	s_cbranch_execz .LBB16_11
; %bb.10:
	v_mul_f32_e32 v5, 0xbfb8aa3b, v12
	s_mov_b32 s2, 0xbfb8aa3b
	v_rndne_f32_e32 v13, v5
	v_sub_f32_e32 v16, v5, v13
	v_fma_f32 v5, v12, s2, -v5
	v_fmac_f32_e32 v5, 0xb2a5705f, v12
	v_add_f32_e32 v5, v16, v5
	v_exp_f32_e32 v5, v5
	v_cvt_i32_f32_e32 v13, v13
	s_mov_b32 s2, 0x42ce8ed0
	v_cmp_nlt_f32_e32 vcc, s2, v12
	s_mov_b32 s2, 0xc2b17218
	v_ldexp_f32 v5, v5, v13
	v_cndmask_b32_e32 v5, 0, v5, vcc
	v_mov_b32_e32 v13, 0x7f800000
	v_cmp_ngt_f32_e32 vcc, s2, v12
	v_cndmask_b32_e32 v5, v13, v5, vcc
	v_add_f32_e32 v5, 1.0, v5
	v_div_scale_f32 v12, s[2:3], v5, v5, 1.0
	v_rcp_f32_e32 v13, v12
	v_fma_f32 v16, -v12, v13, 1.0
	v_fmac_f32_e32 v13, v16, v13
	v_div_scale_f32 v16, vcc, 1.0, v5, 1.0
	v_mul_f32_e32 v17, v16, v13
	v_fma_f32 v20, -v12, v17, v16
	v_fmac_f32_e32 v17, v20, v13
	v_fma_f32 v12, -v12, v17, v16
	v_div_fmas_f32 v12, v12, v13, v17
	v_div_fixup_f32 v5, v12, v5, 1.0
.LBB16_11:
	s_or_b64 exec, exec, s[0:1]
	v_and_b32_e32 v6, 0xffff0000, v6
	v_cmp_o_f32_e32 vcc, v6, v6
	v_mov_b32_e32 v13, 0
	v_mov_b32_e32 v12, 0
	s_and_saveexec_b64 s[0:1], vcc
	s_cbranch_execz .LBB16_13
; %bb.12:
	v_mul_f32_e32 v12, 0xbfb8aa3b, v6
	s_mov_b32 s2, 0xbfb8aa3b
	v_rndne_f32_e32 v16, v12
	v_sub_f32_e32 v17, v12, v16
	v_fma_f32 v12, v6, s2, -v12
	v_fmac_f32_e32 v12, 0xb2a5705f, v6
	v_add_f32_e32 v12, v17, v12
	v_exp_f32_e32 v12, v12
	v_cvt_i32_f32_e32 v16, v16
	s_mov_b32 s2, 0x42ce8ed0
	v_cmp_nlt_f32_e32 vcc, s2, v6
	s_mov_b32 s2, 0xc2b17218
	v_ldexp_f32 v12, v12, v16
	v_cndmask_b32_e32 v12, 0, v12, vcc
	v_mov_b32_e32 v16, 0x7f800000
	v_cmp_ngt_f32_e32 vcc, s2, v6
	v_cndmask_b32_e32 v6, v16, v12, vcc
	v_add_f32_e32 v6, 1.0, v6
	v_div_scale_f32 v12, s[2:3], v6, v6, 1.0
	v_rcp_f32_e32 v16, v12
	v_fma_f32 v17, -v12, v16, 1.0
	v_fmac_f32_e32 v16, v17, v16
	v_div_scale_f32 v17, vcc, 1.0, v6, 1.0
	v_mul_f32_e32 v20, v17, v16
	v_fma_f32 v21, -v12, v20, v17
	v_fmac_f32_e32 v20, v21, v16
	v_fma_f32 v12, -v12, v20, v17
	v_div_fmas_f32 v12, v12, v16, v20
	v_div_fixup_f32 v12, v12, v6, 1.0
.LBB16_13:
	s_or_b64 exec, exec, s[0:1]
	v_lshlrev_b32_e32 v6, 16, v7
	v_cmp_o_f32_e32 vcc, v6, v6
	s_and_saveexec_b64 s[0:1], vcc
	s_cbranch_execz .LBB16_15
; %bb.14:
	v_mul_f32_e32 v13, 0xbfb8aa3b, v6
	s_mov_b32 s2, 0xbfb8aa3b
	v_rndne_f32_e32 v16, v13
	v_sub_f32_e32 v17, v13, v16
	v_fma_f32 v13, v6, s2, -v13
	v_fmac_f32_e32 v13, 0xb2a5705f, v6
	v_add_f32_e32 v13, v17, v13
	v_exp_f32_e32 v13, v13
	v_cvt_i32_f32_e32 v16, v16
	s_mov_b32 s2, 0x42ce8ed0
	v_cmp_nlt_f32_e32 vcc, s2, v6
	s_mov_b32 s2, 0xc2b17218
	v_ldexp_f32 v13, v13, v16
	v_cndmask_b32_e32 v13, 0, v13, vcc
	v_mov_b32_e32 v16, 0x7f800000
	v_cmp_ngt_f32_e32 vcc, s2, v6
	v_cndmask_b32_e32 v6, v16, v13, vcc
	v_add_f32_e32 v6, 1.0, v6
	v_div_scale_f32 v13, s[2:3], v6, v6, 1.0
	v_rcp_f32_e32 v16, v13
	v_fma_f32 v17, -v13, v16, 1.0
	v_fmac_f32_e32 v16, v17, v16
	v_div_scale_f32 v17, vcc, 1.0, v6, 1.0
	v_mul_f32_e32 v20, v17, v16
	v_fma_f32 v21, -v13, v20, v17
	v_fmac_f32_e32 v20, v21, v16
	v_fma_f32 v13, -v13, v20, v17
	v_div_fmas_f32 v13, v13, v16, v20
	v_div_fixup_f32 v13, v13, v6, 1.0
.LBB16_15:
	s_or_b64 exec, exec, s[0:1]
	v_and_b32_e32 v16, 0xffff0000, v7
	v_cmp_o_f32_e32 vcc, v16, v16
	v_mov_b32_e32 v7, 0
	v_mov_b32_e32 v6, 0
	s_and_saveexec_b64 s[0:1], vcc
	s_cbranch_execz .LBB16_17
; %bb.16:
	v_mul_f32_e32 v6, 0xbfb8aa3b, v16
	s_mov_b32 s2, 0xbfb8aa3b
	v_rndne_f32_e32 v17, v6
	v_sub_f32_e32 v20, v6, v17
	v_fma_f32 v6, v16, s2, -v6
	v_fmac_f32_e32 v6, 0xb2a5705f, v16
	v_add_f32_e32 v6, v20, v6
	v_exp_f32_e32 v6, v6
	v_cvt_i32_f32_e32 v17, v17
	s_mov_b32 s2, 0x42ce8ed0
	v_cmp_nlt_f32_e32 vcc, s2, v16
	s_mov_b32 s2, 0xc2b17218
	v_ldexp_f32 v6, v6, v17
	v_cndmask_b32_e32 v6, 0, v6, vcc
	v_mov_b32_e32 v17, 0x7f800000
	v_cmp_ngt_f32_e32 vcc, s2, v16
	v_cndmask_b32_e32 v6, v17, v6, vcc
	v_add_f32_e32 v6, 1.0, v6
	v_div_scale_f32 v16, s[2:3], v6, v6, 1.0
	v_rcp_f32_e32 v17, v16
	v_fma_f32 v20, -v16, v17, 1.0
	v_fmac_f32_e32 v17, v20, v17
	v_div_scale_f32 v20, vcc, 1.0, v6, 1.0
	v_mul_f32_e32 v21, v20, v17
	v_fma_f32 v22, -v16, v21, v20
	v_fmac_f32_e32 v21, v22, v17
	v_fma_f32 v16, -v16, v21, v20
	v_div_fmas_f32 v16, v16, v17, v21
	v_div_fixup_f32 v6, v16, v6, 1.0
.LBB16_17:
	s_or_b64 exec, exec, s[0:1]
	v_lshlrev_b32_e32 v16, 16, v18
	v_cmp_o_f32_e32 vcc, v16, v16
	s_and_saveexec_b64 s[0:1], vcc
	s_cbranch_execz .LBB16_19
; %bb.18:
	v_mul_f32_e32 v7, 0xbfb8aa3b, v16
	s_mov_b32 s2, 0xbfb8aa3b
	v_rndne_f32_e32 v17, v7
	v_sub_f32_e32 v20, v7, v17
	v_fma_f32 v7, v16, s2, -v7
	v_fmac_f32_e32 v7, 0xb2a5705f, v16
	v_add_f32_e32 v7, v20, v7
	v_exp_f32_e32 v7, v7
	v_cvt_i32_f32_e32 v17, v17
	s_mov_b32 s2, 0x42ce8ed0
	v_cmp_nlt_f32_e32 vcc, s2, v16
	s_mov_b32 s2, 0xc2b17218
	v_ldexp_f32 v7, v7, v17
	v_cndmask_b32_e32 v7, 0, v7, vcc
	v_mov_b32_e32 v17, 0x7f800000
	v_cmp_ngt_f32_e32 vcc, s2, v16
	v_cndmask_b32_e32 v7, v17, v7, vcc
	v_add_f32_e32 v7, 1.0, v7
	v_div_scale_f32 v16, s[2:3], v7, v7, 1.0
	v_rcp_f32_e32 v17, v16
	v_fma_f32 v20, -v16, v17, 1.0
	v_fmac_f32_e32 v17, v20, v17
	v_div_scale_f32 v20, vcc, 1.0, v7, 1.0
	v_mul_f32_e32 v21, v20, v17
	v_fma_f32 v22, -v16, v21, v20
	v_fmac_f32_e32 v21, v22, v17
	v_fma_f32 v16, -v16, v21, v20
	v_div_fmas_f32 v16, v16, v17, v21
	v_div_fixup_f32 v7, v16, v7, 1.0
.LBB16_19:
	s_or_b64 exec, exec, s[0:1]
	v_and_b32_e32 v18, 0xffff0000, v18
	v_cmp_o_f32_e32 vcc, v18, v18
	v_mov_b32_e32 v17, 0
	v_mov_b32_e32 v16, 0
	s_and_saveexec_b64 s[0:1], vcc
	s_cbranch_execz .LBB16_21
; %bb.20:
	v_mul_f32_e32 v16, 0xbfb8aa3b, v18
	s_mov_b32 s2, 0xbfb8aa3b
	v_rndne_f32_e32 v20, v16
	v_sub_f32_e32 v21, v16, v20
	v_fma_f32 v16, v18, s2, -v16
	v_fmac_f32_e32 v16, 0xb2a5705f, v18
	v_add_f32_e32 v16, v21, v16
	v_exp_f32_e32 v16, v16
	v_cvt_i32_f32_e32 v20, v20
	s_mov_b32 s2, 0x42ce8ed0
	v_cmp_nlt_f32_e32 vcc, s2, v18
	s_mov_b32 s2, 0xc2b17218
	v_ldexp_f32 v16, v16, v20
	v_cndmask_b32_e32 v16, 0, v16, vcc
	v_mov_b32_e32 v20, 0x7f800000
	v_cmp_ngt_f32_e32 vcc, s2, v18
	v_cndmask_b32_e32 v16, v20, v16, vcc
	v_add_f32_e32 v16, 1.0, v16
	v_div_scale_f32 v18, s[2:3], v16, v16, 1.0
	v_rcp_f32_e32 v20, v18
	v_fma_f32 v21, -v18, v20, 1.0
	v_fmac_f32_e32 v20, v21, v20
	v_div_scale_f32 v21, vcc, 1.0, v16, 1.0
	v_mul_f32_e32 v22, v21, v20
	v_fma_f32 v23, -v18, v22, v21
	v_fmac_f32_e32 v22, v23, v20
	v_fma_f32 v18, -v18, v22, v21
	v_div_fmas_f32 v18, v18, v20, v22
	v_div_fixup_f32 v16, v18, v16, 1.0
.LBB16_21:
	s_or_b64 exec, exec, s[0:1]
	v_lshlrev_b32_e32 v18, 16, v19
	v_cmp_o_f32_e32 vcc, v18, v18
	s_and_saveexec_b64 s[0:1], vcc
	s_cbranch_execz .LBB16_23
; %bb.22:
	v_mul_f32_e32 v17, 0xbfb8aa3b, v18
	s_mov_b32 s2, 0xbfb8aa3b
	v_rndne_f32_e32 v20, v17
	v_sub_f32_e32 v21, v17, v20
	v_fma_f32 v17, v18, s2, -v17
	v_fmac_f32_e32 v17, 0xb2a5705f, v18
	v_add_f32_e32 v17, v21, v17
	v_exp_f32_e32 v17, v17
	v_cvt_i32_f32_e32 v20, v20
	s_mov_b32 s2, 0x42ce8ed0
	v_cmp_nlt_f32_e32 vcc, s2, v18
	s_mov_b32 s2, 0xc2b17218
	v_ldexp_f32 v17, v17, v20
	v_cndmask_b32_e32 v17, 0, v17, vcc
	v_mov_b32_e32 v20, 0x7f800000
	v_cmp_ngt_f32_e32 vcc, s2, v18
	v_cndmask_b32_e32 v17, v20, v17, vcc
	v_add_f32_e32 v17, 1.0, v17
	v_div_scale_f32 v18, s[2:3], v17, v17, 1.0
	v_rcp_f32_e32 v20, v18
	v_fma_f32 v21, -v18, v20, 1.0
	v_fmac_f32_e32 v20, v21, v20
	v_div_scale_f32 v21, vcc, 1.0, v17, 1.0
	v_mul_f32_e32 v22, v21, v20
	v_fma_f32 v23, -v18, v22, v21
	v_fmac_f32_e32 v22, v23, v20
	v_fma_f32 v18, -v18, v22, v21
	v_div_fmas_f32 v18, v18, v20, v22
	v_div_fixup_f32 v17, v18, v17, 1.0
.LBB16_23:
	s_or_b64 exec, exec, s[0:1]
	v_and_b32_e32 v18, 0xffff0000, v19
	v_cmp_o_f32_e32 vcc, v18, v18
	v_mov_b32_e32 v32, 0
	s_and_saveexec_b64 s[0:1], vcc
	s_cbranch_execz .LBB16_25
; %bb.24:
	v_mul_f32_e32 v19, 0xbfb8aa3b, v18
	s_mov_b32 s2, 0xbfb8aa3b
	v_rndne_f32_e32 v20, v19
	v_sub_f32_e32 v21, v19, v20
	v_fma_f32 v19, v18, s2, -v19
	v_fmac_f32_e32 v19, 0xb2a5705f, v18
	v_add_f32_e32 v19, v21, v19
	v_exp_f32_e32 v19, v19
	v_cvt_i32_f32_e32 v20, v20
	s_mov_b32 s2, 0x42ce8ed0
	v_cmp_nlt_f32_e32 vcc, s2, v18
	s_mov_b32 s2, 0xc2b17218
	v_ldexp_f32 v19, v19, v20
	v_cndmask_b32_e32 v19, 0, v19, vcc
	v_mov_b32_e32 v20, 0x7f800000
	v_cmp_ngt_f32_e32 vcc, s2, v18
	v_cndmask_b32_e32 v18, v20, v19, vcc
	v_add_f32_e32 v18, 1.0, v18
	v_div_scale_f32 v19, s[2:3], v18, v18, 1.0
	v_rcp_f32_e32 v20, v19
	v_fma_f32 v21, -v19, v20, 1.0
	v_fmac_f32_e32 v20, v21, v20
	v_div_scale_f32 v21, vcc, 1.0, v18, 1.0
	v_mul_f32_e32 v22, v21, v20
	v_fma_f32 v23, -v19, v22, v21
	v_fmac_f32_e32 v22, v23, v20
	v_fma_f32 v19, -v19, v22, v21
	v_div_fmas_f32 v19, v19, v20, v22
	v_div_fixup_f32 v32, v19, v18, 1.0
.LBB16_25:
	s_or_b64 exec, exec, s[0:1]
	s_waitcnt vmcnt(0)
	v_lshlrev_b32_e32 v20, 16, v0
	v_and_b32_e32 v18, 0xffff0000, v0
	v_lshlrev_b32_e32 v19, 16, v1
	v_add_f32_e32 v33, v30, v20
	v_pk_add_f32 v[18:19], v[10:11], v[18:19]
	v_max_f32_e32 v20, 0xff7fffff, v33
	s_mov_b32 s2, 0xff7fffff
	v_cmp_ngt_f32_e32 vcc, v18, v20
	v_mov_b32_e32 v0, v20
	v_mov_b32_e32 v22, v18
	s_and_saveexec_b64 s[0:1], vcc
	s_cbranch_execz .LBB16_29
; %bb.26:
	v_cmp_lt_f32_e32 vcc, s2, v18
	v_mov_b32_e32 v0, 0xff7fffff
	s_and_saveexec_b64 s[2:3], vcc
; %bb.27:
	v_mov_b32_e32 v0, v18
; %bb.28:
	s_or_b64 exec, exec, s[2:3]
	v_mov_b32_e32 v22, v20
.LBB16_29:
	s_or_b64 exec, exec, s[0:1]
	v_cmp_ngt_f32_e32 vcc, v19, v22
	v_mov_b32_e32 v21, v22
	v_mov_b32_e32 v20, v19
	s_and_saveexec_b64 s[0:1], vcc
	s_cbranch_execz .LBB16_33
; %bb.30:
	v_cmp_gt_f32_e32 vcc, v19, v0
	s_and_saveexec_b64 s[2:3], vcc
; %bb.31:
	v_mov_b32_e32 v0, v19
; %bb.32:
	s_or_b64 exec, exec, s[2:3]
	v_mov_b32_e32 v21, v0
	v_mov_b32_e32 v20, v22
.LBB16_33:
	s_or_b64 exec, exec, s[0:1]
	v_and_b32_e32 v0, 0xffff0000, v1
	v_lshlrev_b32_e32 v1, 16, v2
	v_pk_add_f32 v[0:1], v[4:5], v[0:1]
	v_cmp_ngt_f32_e32 vcc, v0, v20
	v_mov_b32_e32 v26, v20
	v_mov_b32_e32 v25, v0
	s_and_saveexec_b64 s[0:1], vcc
	s_cbranch_execz .LBB16_37
; %bb.34:
	v_cmp_gt_f32_e32 vcc, v0, v21
	s_and_saveexec_b64 s[2:3], vcc
; %bb.35:
	v_mov_b32_e32 v21, v0
; %bb.36:
	s_or_b64 exec, exec, s[2:3]
	v_mov_b32_e32 v26, v21
	v_mov_b32_e32 v25, v20
.LBB16_37:
	s_or_b64 exec, exec, s[0:1]
	v_cmp_ngt_f32_e32 vcc, v1, v25
	v_mov_b32_e32 v23, v25
	v_mov_b32_e32 v22, v1
	s_and_saveexec_b64 s[0:1], vcc
	s_cbranch_execz .LBB16_41
; %bb.38:
	v_cmp_gt_f32_e32 vcc, v1, v26
	s_and_saveexec_b64 s[2:3], vcc
; %bb.39:
	v_mov_b32_e32 v26, v1
; %bb.40:
	s_or_b64 exec, exec, s[2:3]
	v_mov_b32_e32 v23, v26
	v_mov_b32_e32 v22, v25
.LBB16_41:
	s_or_b64 exec, exec, s[0:1]
	v_and_b32_e32 v20, 0xffff0000, v2
	v_lshlrev_b32_e32 v21, 16, v3
	v_pk_add_f32 v[20:21], v[12:13], v[20:21]
	v_cmp_ngt_f32_e32 vcc, v20, v22
	v_mov_b32_e32 v25, v22
	v_mov_b32_e32 v2, v20
	s_and_saveexec_b64 s[0:1], vcc
	s_cbranch_execz .LBB16_45
; %bb.42:
	v_cmp_gt_f32_e32 vcc, v20, v23
	s_and_saveexec_b64 s[2:3], vcc
; %bb.43:
	v_mov_b32_e32 v23, v20
; %bb.44:
	s_or_b64 exec, exec, s[2:3]
	v_mov_b32_e32 v25, v23
	v_mov_b32_e32 v2, v22
.LBB16_45:
	;; [unrolled: 35-line block ×4, first 2 shown]
	s_or_b64 exec, exec, s[0:1]
	v_cmp_ngt_f32_e32 vcc, v23, v27
	v_mov_b32_e32 v25, v27
	v_mov_b32_e32 v14, v23
	s_and_saveexec_b64 s[0:1], vcc
	s_cbranch_execz .LBB16_65
; %bb.62:
	v_cmp_gt_f32_e32 vcc, v23, v31
	s_and_saveexec_b64 s[2:3], vcc
; %bb.63:
	v_mov_b32_e32 v31, v23
; %bb.64:
	s_or_b64 exec, exec, s[2:3]
	v_mov_b32_e32 v25, v31
	v_mov_b32_e32 v14, v27
.LBB16_65:
	s_or_b64 exec, exec, s[0:1]
	v_and_b32_e32 v15, 0xffff0000, v15
	v_add_f32_e32 v34, v32, v15
	v_cmp_ngt_f32_e32 vcc, v34, v14
	v_mov_b32_e32 v15, v14
	v_mov_b32_e32 v26, v34
	s_and_saveexec_b64 s[0:1], vcc
	s_cbranch_execz .LBB16_69
; %bb.66:
	v_cmp_gt_f32_e32 vcc, v34, v25
	s_and_saveexec_b64 s[2:3], vcc
; %bb.67:
	v_mov_b32_e32 v25, v34
; %bb.68:
	s_or_b64 exec, exec, s[2:3]
	v_mov_b32_e32 v15, v25
	v_mov_b32_e32 v26, v14
.LBB16_69:
	s_or_b64 exec, exec, s[0:1]
	v_cmp_lt_i64_e64 s[0:1], s[46:47], 8
	s_and_b64 vcc, exec, s[0:1]
	s_cbranch_vccz .LBB16_72
; %bb.70:
	s_sub_u32 s6, 8, s46
	s_subb_u32 s7, 0, s47
	v_add_f32_e32 v14, v15, v26
	s_mov_b64 s[8:9], 0
	s_mov_b32 s10, 0x2aaaaaab
	v_mov_b32_e32 v15, 0x7f7fffff
.LBB16_71:                              ; =>This Inner Loop Header: Depth=1
	v_mov_b32_dpp v25, v29 quad_perm:[1,0,3,2] row_mask:0xf bank_mask:0xf
	v_mov_b32_dpp v26, v14 quad_perm:[1,0,3,2] row_mask:0xf bank_mask:0xf
	v_cmp_eq_f32_e64 s[0:1], v14, v26
	v_cmp_lt_i32_e64 s[2:3], v29, v25
	v_cmp_lt_f32_e32 vcc, v14, v26
	s_and_b64 s[0:1], s[2:3], s[0:1]
	s_or_b64 vcc, vcc, s[0:1]
	v_cndmask_b32_e32 v26, v26, v14, vcc
	v_cndmask_b32_e32 v25, v25, v29, vcc
	s_nop 0
	v_mov_b32_dpp v31, v26 quad_perm:[2,3,0,1] row_mask:0xf bank_mask:0xf
	v_mov_b32_dpp v27, v25 quad_perm:[2,3,0,1] row_mask:0xf bank_mask:0xf
	v_cmp_eq_f32_e32 vcc, v26, v31
	v_cmp_lt_i32_e64 s[0:1], v25, v27
	s_and_b64 vcc, vcc, s[0:1]
	v_cmp_lt_f32_e64 s[0:1], v26, v31
	v_cndmask_b32_e32 v35, v31, v26, vcc
	s_or_b64 vcc, s[0:1], vcc
	v_cndmask_b32_e64 v26, v35, v26, s[0:1]
	v_cndmask_b32_e32 v25, v27, v25, vcc
	s_add_u32 s8, s8, 1
	v_mov_b32_dpp v31, v26 row_half_mirror row_mask:0xf bank_mask:0xf
	v_mov_b32_dpp v27, v25 row_half_mirror row_mask:0xf bank_mask:0xf
	v_min_i32_e32 v35, v25, v27
	v_cmp_eq_f32_e32 vcc, v26, v31
	v_cndmask_b32_e32 v27, v27, v35, vcc
	v_cmp_lt_f32_e32 vcc, v26, v31
	v_cndmask_b32_e32 v25, v27, v25, vcc
	v_mul_hi_i32 v25, v25, s10
	v_lshrrev_b32_e32 v26, 31, v25
	v_ashrrev_i32_e32 v25, 1, v25
	v_add_u32_e32 v25, v25, v26
	s_addc_u32 s9, s9, 0
	v_cmp_eq_u32_e32 vcc, v28, v25
	v_pk_mov_b32 v[26:27], s[8:9], s[8:9] op_sel:[0,1]
	v_cndmask_b32_e32 v33, v33, v15, vcc
	v_cndmask_b32_e32 v14, v14, v15, vcc
	v_cmp_le_i64_e32 vcc, s[6:7], v[26:27]
	s_cbranch_vccz .LBB16_71
.LBB16_72:
	s_sub_u32 s26, s48, s50
	s_subb_u32 s27, s49, s51
	s_mov_b64 s[0:1], src_shared_base
	s_cmp_lg_u32 0, -1
	s_cselect_b32 s0, s1, 0
	s_cselect_b32 s1, 0, 0
	s_add_u32 s1, s1, 0xff
	s_addc_u32 s0, s0, 0
	s_and_b32 s1, s1, 0xffffff00
	v_mov_b32_e32 v14, s1
	v_mov_b32_e32 v15, s0
	v_lshlrev_b32_e32 v25, 2, v24
	v_mad_u64_u32 v[14:15], s[0:1], v25, s48, v[14:15]
	s_load_dword s33, s[4:5], 0x48
	v_mov_b32_e32 v24, v15
	v_mad_u64_u32 v[24:25], s[0:1], v25, s49, v[24:25]
	v_cmp_lt_i64_e64 s[0:1], s[26:27], 1
	v_mov_b32_e32 v15, v24
	s_and_b64 vcc, exec, s[0:1]
	v_cmp_eq_u32_e64 s[0:1], 0, v28
	s_cbranch_vccnz .LBB16_83
; %bb.73:
	s_waitcnt lgkmcnt(0)
	v_mad_u64_u32 v[24:25], s[2:3], s33, v8, 0
	s_ashr_i32 s6, s33, 31
	v_mov_b32_e32 v26, v25
	v_mad_u64_u32 v[26:27], s[2:3], s6, v8, v[26:27]
	v_mov_b32_e32 v25, v26
	v_lshlrev_b64 v[24:25], 2, v[24:25]
	v_mov_b32_e32 v26, s43
	v_add_co_u32_e32 v24, vcc, s42, v24
	v_addc_co_u32_e32 v25, vcc, v26, v25, vcc
	v_add_u32_e32 v35, 4, v29
	v_add_u32_e32 v36, 5, v29
	;; [unrolled: 1-line block ×8, first 2 shown]
	s_mov_b64 s[28:29], 0
	v_mov_b32_e32 v31, 0
	s_mov_b32 s36, 0x7f7fffff
	s_mov_b32 s37, 0x2aaaaaab
	v_mov_b32_e32 v43, 0xff7fffff
	v_pk_mov_b32 v[26:27], v[14:15], v[14:15] op_sel:[0,1]
	s_branch .LBB16_75
.LBB16_74:                              ;   in Loop: Header=BB16_75 Depth=1
	s_or_b64 exec, exec, s[2:3]
	v_add_co_u32_e32 v24, vcc, 4, v24
	s_add_u32 s28, s28, 1
	v_addc_co_u32_e32 v25, vcc, 0, v25, vcc
	s_addc_u32 s29, s29, 0
	v_add_co_u32_e32 v26, vcc, 4, v26
	v_addc_co_u32_e32 v27, vcc, 0, v27, vcc
	v_pk_mov_b32 v[44:45], s[28:29], s[28:29] op_sel:[0,1]
	v_cmp_le_i64_e32 vcc, s[26:27], v[44:45]
	s_cbranch_vccnz .LBB16_84
.LBB16_75:                              ; =>This Inner Loop Header: Depth=1
	v_cmp_neq_f32_e32 vcc, s36, v33
	v_mov_b32_e32 v44, 0xff7fffff
	v_mov_b32_e32 v45, v29
	s_and_saveexec_b64 s[2:3], vcc
	s_cbranch_execz .LBB16_77
; %bb.76:                               ;   in Loop: Header=BB16_75 Depth=1
	v_cmp_gt_f32_e32 vcc, v18, v33
	v_cndmask_b32_e32 v44, v33, v18, vcc
	v_cndmask_b32_e64 v45, 0, 1, vcc
	v_cmp_gt_f32_e32 vcc, v19, v44
	v_cndmask_b32_e32 v44, v44, v19, vcc
	v_cndmask_b32_e64 v45, v45, 2, vcc
	;; [unrolled: 3-line block ×3, first 2 shown]
	v_cmp_gt_f32_e32 vcc, v1, v44
	v_or_b32_e32 v45, v45, v29
	v_cndmask_b32_e32 v44, v44, v1, vcc
	v_cndmask_b32_e32 v45, v45, v35, vcc
	v_cmp_gt_f32_e32 vcc, v20, v44
	v_cndmask_b32_e32 v44, v44, v20, vcc
	v_cndmask_b32_e32 v45, v45, v36, vcc
	v_cmp_gt_f32_e32 vcc, v21, v44
	;; [unrolled: 3-line block ×7, first 2 shown]
	v_cndmask_b32_e32 v44, v44, v34, vcc
	v_cndmask_b32_e32 v45, v45, v42, vcc
.LBB16_77:                              ;   in Loop: Header=BB16_75 Depth=1
	s_or_b64 exec, exec, s[2:3]
	s_nop 0
	v_mov_b32_dpp v46, v45 quad_perm:[1,0,3,2] row_mask:0xf bank_mask:0xf
	v_mov_b32_dpp v47, v44 quad_perm:[1,0,3,2] row_mask:0xf bank_mask:0xf
	v_cmp_eq_f32_e64 s[2:3], v44, v47
	v_cmp_lt_i32_e64 s[6:7], v45, v46
	v_cmp_gt_f32_e32 vcc, v44, v47
	s_and_b64 s[2:3], s[2:3], s[6:7]
	s_or_b64 vcc, vcc, s[2:3]
	v_cndmask_b32_e32 v44, v47, v44, vcc
	v_cndmask_b32_e32 v45, v46, v45, vcc
	s_nop 0
	v_mov_b32_dpp v47, v44 quad_perm:[2,3,0,1] row_mask:0xf bank_mask:0xf
	v_mov_b32_dpp v46, v45 quad_perm:[2,3,0,1] row_mask:0xf bank_mask:0xf
	v_cmp_eq_f32_e32 vcc, v44, v47
	v_cmp_lt_i32_e64 s[2:3], v45, v46
	s_and_b64 vcc, vcc, s[2:3]
	v_cmp_gt_f32_e64 s[2:3], v44, v47
	v_cndmask_b32_e32 v48, v47, v44, vcc
	s_or_b64 vcc, s[2:3], vcc
	v_cndmask_b32_e64 v44, v48, v44, s[2:3]
	v_cndmask_b32_e32 v45, v46, v45, vcc
	s_nop 0
	v_mov_b32_dpp v47, v44 row_half_mirror row_mask:0xf bank_mask:0xf
	v_mov_b32_dpp v46, v45 row_half_mirror row_mask:0xf bank_mask:0xf
	v_min_i32_e32 v48, v45, v46
	v_cmp_eq_f32_e32 vcc, v44, v47
	v_cndmask_b32_e32 v46, v46, v48, vcc
	v_cmp_gt_f32_e32 vcc, v44, v47
	v_cndmask_b32_e32 v44, v46, v45, vcc
	v_mul_hi_i32 v45, v44, s37
	v_lshrrev_b32_e32 v46, 31, v45
	v_ashrrev_i32_e32 v45, 1, v45
	v_add_u32_e32 v45, v45, v46
	v_cmp_eq_u32_e32 vcc, v28, v45
	s_and_saveexec_b64 s[30:31], vcc
	s_cbranch_execz .LBB16_81
; %bb.78:                               ;   in Loop: Header=BB16_75 Depth=1
	v_sub_u32_e32 v45, v44, v29
	v_cmp_eq_u32_e64 s[20:21], 2, v45
	v_cmp_eq_u32_e64 s[22:23], 1, v45
	;; [unrolled: 1-line block ×10, first 2 shown]
	v_cmp_eq_u32_e32 vcc, 11, v45
	v_cmp_gt_u32_e64 s[24:25], 12, v45
	s_and_saveexec_b64 s[34:35], s[24:25]
	s_cbranch_execz .LBB16_80
; %bb.79:                               ;   in Loop: Header=BB16_75 Depth=1
	v_cndmask_b32_e64 v46, v30, v10, s[22:23]
	v_cndmask_b32_e64 v46, v46, v11, s[20:21]
	;; [unrolled: 1-line block ×10, first 2 shown]
	v_cndmask_b32_e32 v46, v46, v32, vcc
	flat_store_dword v[26:27], v46
.LBB16_80:                              ;   in Loop: Header=BB16_75 Depth=1
	s_or_b64 exec, exec, s[34:35]
	v_cmp_ne_u32_e64 s[24:25], 0, v45
	v_cndmask_b32_e64 v33, v43, v33, s[24:25]
	v_cndmask_b32_e64 v19, v19, v43, s[20:21]
	;; [unrolled: 1-line block ×11, first 2 shown]
	v_cndmask_b32_e32 v34, v34, v43, vcc
	global_store_dword v[24:25], v44, off
.LBB16_81:                              ;   in Loop: Header=BB16_75 Depth=1
	s_or_b64 exec, exec, s[30:31]
	s_waitcnt lgkmcnt(0)
	s_barrier
	s_and_saveexec_b64 s[2:3], s[0:1]
	s_cbranch_execz .LBB16_74
; %bb.82:                               ;   in Loop: Header=BB16_75 Depth=1
	flat_load_dword v44, v[26:27]
	s_waitcnt vmcnt(0) lgkmcnt(0)
	v_add_f32_e32 v31, v31, v44
	s_branch .LBB16_74
.LBB16_83:
	v_mov_b32_e32 v31, 0
.LBB16_84:
	v_cmp_eq_u32_e64 s[0:1], 0, v28
	v_cmp_gt_i64_e64 s[2:3], s[50:51], 0
	s_and_b64 s[6:7], s[0:1], s[2:3]
	s_and_saveexec_b64 s[2:3], s[6:7]
	s_cbranch_execz .LBB16_97
; %bb.85:
	v_cmp_le_u64_e32 vcc, s[50:51], v[8:9]
	v_pk_mov_b32 v[0:1], v[8:9], v[8:9] op_sel:[0,1]
	s_and_saveexec_b64 s[6:7], vcc
	s_cbranch_execz .LBB16_87
; %bb.86:
	v_cvt_f32_u32_e32 v0, s50
	s_sub_i32 s8, 0, s50
	v_rcp_iflag_f32_e32 v0, v0
	v_mul_f32_e32 v0, 0x4f7ffffe, v0
	v_cvt_u32_f32_e32 v0, v0
	v_mul_lo_u32 v1, s8, v0
	v_mul_hi_u32 v1, v0, v1
	v_add_u32_e32 v0, v0, v1
	v_mul_hi_u32 v0, v8, v0
	v_mul_lo_u32 v0, v0, s50
	v_sub_u32_e32 v0, v8, v0
	v_subrev_u32_e32 v1, s50, v0
	v_cmp_le_u32_e32 vcc, s50, v0
	v_cndmask_b32_e32 v0, v0, v1, vcc
	v_subrev_u32_e32 v1, s50, v0
	v_cmp_le_u32_e32 vcc, s50, v0
	v_cndmask_b32_e32 v0, v0, v1, vcc
	v_mov_b32_e32 v1, 0
.LBB16_87:
	s_or_b64 exec, exec, s[6:7]
	s_load_dwordx2 s[4:5], s[4:5], 0x40
	v_cvt_f64_f32_e32 v[6:7], v31
	v_pk_mov_b32 v[2:3], s[26:27], s[26:27] op_sel:[0,1]
	s_waitcnt lgkmcnt(0)
	v_mad_u64_u32 v[10:11], s[6:7], s33, v8, v[2:3]
	v_div_scale_f64 v[12:13], s[6:7], s[4:5], s[4:5], v[6:7]
	v_rcp_f64_e32 v[16:17], v[12:13]
	s_ashr_i32 s8, s33, 31
	v_mov_b32_e32 v2, v11
	v_mad_u64_u32 v[2:3], s[6:7], s8, v8, v[2:3]
	v_mov_b32_e32 v11, v2
	v_lshlrev_b64 v[2:3], 2, v[10:11]
	v_fma_f64 v[18:19], -v[12:13], v[16:17], 1.0
	v_mov_b32_e32 v5, s43
	v_add_co_u32_e32 v4, vcc, s42, v2
	v_fmac_f64_e32 v[16:17], v[16:17], v[18:19]
	v_addc_co_u32_e32 v5, vcc, v5, v3, vcc
	v_fma_f64 v[18:19], -v[12:13], v[16:17], 1.0
	v_fmac_f64_e32 v[16:17], v[16:17], v[18:19]
	v_div_scale_f64 v[18:19], vcc, v[6:7], s[4:5], v[6:7]
	v_mul_f64 v[20:21], v[18:19], v[16:17]
	v_fma_f64 v[12:13], -v[12:13], v[20:21], v[18:19]
	v_add_u32_e32 v9, 0x60, v0
	s_nop 0
	v_div_fmas_f64 v[12:13], v[12:13], v[16:17], v[20:21]
	v_div_fixup_f64 v[6:7], v[12:13], s[4:5], v[6:7]
	v_cvt_f32_f64_e32 v6, v[6:7]
	v_mov_b32_e32 v7, s41
	v_add_co_u32_e32 v16, vcc, s40, v2
	v_addc_co_u32_e32 v17, vcc, v7, v3, vcc
	v_cmp_lt_u64_e64 s[4:5], s[50:51], 2
	s_and_b64 vcc, exec, s[4:5]
	global_store_dword v[4:5], v9, off
	global_store_dword v[16:17], v6, off
	s_cbranch_vccnz .LBB16_97
; %bb.88:
	s_cmp_eq_u64 s[50:51], 2
	s_cbranch_scc1 .LBB16_93
; %bb.89:
	v_add_co_u32_e32 v2, vcc, 1, v0
	v_addc_co_u32_e32 v3, vcc, 0, v1, vcc
	s_add_u32 s4, s50, -1
	v_add_co_u32_e32 v12, vcc, 4, v4
	s_addc_u32 s5, s51, -1
	v_addc_co_u32_e32 v13, vcc, 0, v5, vcc
	s_and_b32 s6, s4, -2
	s_mov_b32 s7, s5
	v_add_co_u32_e32 v16, vcc, 4, v16
	v_pk_mov_b32 v[4:5], v[2:3], v[2:3] op_sel:[0,1]
	v_mov_b32_e32 v7, v6
	v_addc_co_u32_e32 v17, vcc, 0, v17, vcc
	s_mov_b64 s[8:9], s[6:7]
	v_pk_mov_b32 v[2:3], v[0:1], v[0:1] op_sel:[0,1]
.LBB16_90:                              ; =>This Inner Loop Header: Depth=1
	v_add_u32_e32 v19, 0x61, v4
	v_add_co_u32_e32 v4, vcc, 2, v4
	v_addc_co_u32_e32 v5, vcc, 0, v5, vcc
	v_add_u32_e32 v18, 0x61, v2
	v_add_co_u32_e32 v2, vcc, 2, v2
	v_addc_co_u32_e32 v3, vcc, 0, v3, vcc
	global_store_dwordx2 v[16:17], v[6:7], off
	v_add_co_u32_e32 v16, vcc, 8, v16
	v_addc_co_u32_e32 v17, vcc, 0, v17, vcc
	s_add_u32 s8, s8, -2
	global_store_dwordx2 v[12:13], v[18:19], off
	s_addc_u32 s9, s9, -1
	v_add_co_u32_e32 v12, vcc, 8, v12
	s_cmp_lg_u64 s[8:9], 0
	v_addc_co_u32_e32 v13, vcc, 0, v13, vcc
	s_cbranch_scc1 .LBB16_90
; %bb.91:
	s_cmp_eq_u64 s[4:5], s[6:7]
	s_cbranch_scc1 .LBB16_94
; %bb.92:
	v_mov_b32_e32 v1, s7
	v_add_co_u32_e32 v10, vcc, s6, v10
	s_or_b32 s4, s4, 1
	v_add_u32_e32 v0, s6, v0
	v_addc_co_u32_e32 v11, vcc, v11, v1, vcc
	s_cbranch_execnz .LBB16_95
	s_branch .LBB16_97
.LBB16_93:
	s_mov_b32 s4, 1
	s_cbranch_execnz .LBB16_95
	s_branch .LBB16_97
.LBB16_94:
	s_mov_b32 s4, 1
                                        ; implicit-def: $vgpr10_vgpr11
                                        ; implicit-def: $vgpr0
	s_branch .LBB16_97
.LBB16_95:
	v_add_u32_e32 v7, 0x61, v0
	v_lshlrev_b64 v[0:1], 2, v[10:11]
	v_add_co_u32_e32 v2, vcc, 4, v0
	v_addc_co_u32_e32 v3, vcc, 0, v1, vcc
	v_mov_b32_e32 v1, s41
	v_add_co_u32_e32 v0, vcc, s40, v2
	v_addc_co_u32_e32 v1, vcc, v1, v3, vcc
	v_mov_b32_e32 v4, s43
	v_add_co_u32_e32 v2, vcc, s42, v2
	s_mov_b32 s5, 0
	v_addc_co_u32_e32 v3, vcc, v4, v3, vcc
	v_pk_mov_b32 v[4:5], s[50:51], s[50:51] op_sel:[0,1]
.LBB16_96:                              ; =>This Inner Loop Header: Depth=1
	global_store_dword v[2:3], v7, off
	global_store_dword v[0:1], v6, off
	v_add_co_u32_e32 v0, vcc, 4, v0
	v_addc_co_u32_e32 v1, vcc, 0, v1, vcc
	s_add_u32 s4, s4, 1
	v_add_co_u32_e32 v2, vcc, 4, v2
	v_addc_co_u32_e32 v3, vcc, 0, v3, vcc
	s_addc_u32 s5, s5, 0
	v_cmp_lt_u64_e32 vcc, s[4:5], v[4:5]
	v_add_u32_e32 v7, 1, v7
	s_cbranch_vccnz .LBB16_96
.LBB16_97:
	s_or_b64 exec, exec, s[2:3]
	v_cmp_gt_i64_e64 s[4:5], s[48:49], 0
	s_mov_b64 s[2:3], 0
	s_and_b64 s[0:1], s[0:1], s[4:5]
	s_waitcnt lgkmcnt(0)
	s_barrier
	s_and_b64 exec, exec, s[0:1]
	s_cbranch_execz .LBB16_104
; %bb.98:
	v_mad_u64_u32 v[0:1], s[0:1], s33, v8, 0
	s_ashr_i32 s4, s33, 31
	v_mov_b32_e32 v2, v1
	v_mad_u64_u32 v[2:3], s[0:1], s4, v8, v[2:3]
	v_mov_b32_e32 v1, v2
	v_lshlrev_b64 v[0:1], 2, v[0:1]
	v_mov_b32_e32 v2, s41
	v_add_co_u32_e32 v4, vcc, s40, v0
	v_addc_co_u32_e32 v5, vcc, v2, v1, vcc
	v_cmp_lt_u64_e64 s[0:1], s[48:49], 8
	s_and_b64 vcc, exec, s[0:1]
	s_cbranch_vccnz .LBB16_101
; %bb.99:
	s_and_b32 s3, s49, 0x7fffffff
	s_and_b32 s2, s48, -8
	s_mov_b64 s[0:1], 0
	s_mov_b64 s[4:5], s[2:3]
.LBB16_100:                             ; =>This Inner Loop Header: Depth=1
	v_mov_b32_e32 v1, s1
	v_add_co_u32_e32 v2, vcc, s0, v14
	v_addc_co_u32_e32 v3, vcc, v15, v1, vcc
	flat_load_dword v6, v[2:3]
	v_add_co_u32_e32 v0, vcc, s0, v4
	v_addc_co_u32_e32 v1, vcc, v5, v1, vcc
	s_add_u32 s0, s0, 32
	s_addc_u32 s1, s1, 0
	s_add_u32 s4, s4, -8
	s_addc_u32 s5, s5, -1
	s_cmp_lg_u64 s[4:5], 0
	s_waitcnt vmcnt(0) lgkmcnt(0)
	v_div_scale_f32 v7, s[6:7], v31, v31, v6
	v_rcp_f32_e32 v9, v7
	v_div_scale_f32 v8, vcc, v6, v31, v6
	v_fma_f32 v10, -v7, v9, 1.0
	v_fmac_f32_e32 v9, v10, v9
	v_mul_f32_e32 v10, v8, v9
	v_fma_f32 v11, -v7, v10, v8
	v_fmac_f32_e32 v10, v11, v9
	v_fma_f32 v7, -v7, v10, v8
	v_div_fmas_f32 v7, v7, v9, v10
	v_div_fixup_f32 v6, v7, v31, v6
	global_store_dword v[0:1], v6, off
	flat_load_dword v6, v[2:3] offset:4
	s_waitcnt vmcnt(0) lgkmcnt(0)
	v_div_scale_f32 v7, s[6:7], v31, v31, v6
	v_rcp_f32_e32 v9, v7
	v_div_scale_f32 v8, vcc, v6, v31, v6
	v_fma_f32 v10, -v7, v9, 1.0
	v_fmac_f32_e32 v9, v10, v9
	v_mul_f32_e32 v10, v8, v9
	v_fma_f32 v11, -v7, v10, v8
	v_fmac_f32_e32 v10, v11, v9
	v_fma_f32 v7, -v7, v10, v8
	v_div_fmas_f32 v7, v7, v9, v10
	v_div_fixup_f32 v6, v7, v31, v6
	global_store_dword v[0:1], v6, off offset:4
	flat_load_dword v6, v[2:3] offset:8
	s_waitcnt vmcnt(0) lgkmcnt(0)
	v_div_scale_f32 v7, s[6:7], v31, v31, v6
	v_rcp_f32_e32 v9, v7
	v_div_scale_f32 v8, vcc, v6, v31, v6
	v_fma_f32 v10, -v7, v9, 1.0
	v_fmac_f32_e32 v9, v10, v9
	v_mul_f32_e32 v10, v8, v9
	v_fma_f32 v11, -v7, v10, v8
	v_fmac_f32_e32 v10, v11, v9
	v_fma_f32 v7, -v7, v10, v8
	v_div_fmas_f32 v7, v7, v9, v10
	v_div_fixup_f32 v6, v7, v31, v6
	global_store_dword v[0:1], v6, off offset:8
	;; [unrolled: 14-line block ×7, first 2 shown]
	s_cbranch_scc1 .LBB16_100
.LBB16_101:
	s_and_b32 s0, s48, 7
	s_mov_b32 s1, 0
	s_cmp_eq_u64 s[0:1], 0
	s_cbranch_scc1 .LBB16_104
; %bb.102:
	s_mov_b64 s[4:5], s[0:1]
.LBB16_103:                             ; =>This Inner Loop Header: Depth=1
	s_lshl_b64 s[6:7], s[2:3], 2
	v_mov_b32_e32 v2, s7
	v_add_co_u32_e32 v0, vcc, s6, v14
	v_addc_co_u32_e32 v1, vcc, v15, v2, vcc
	flat_load_dword v3, v[0:1]
	v_add_co_u32_e32 v0, vcc, s6, v4
	v_addc_co_u32_e32 v1, vcc, v5, v2, vcc
	s_add_i32 s0, s2, 1
	s_add_u32 s4, s4, -1
	s_addc_u32 s5, s5, -1
	s_mov_b64 s[2:3], s[0:1]
	s_cmp_lg_u64 s[4:5], 0
	s_waitcnt vmcnt(0) lgkmcnt(0)
	v_div_scale_f32 v2, s[6:7], v31, v31, v3
	v_rcp_f32_e32 v6, v2
	v_div_scale_f32 v7, vcc, v3, v31, v3
	v_fma_f32 v8, -v2, v6, 1.0
	v_fmac_f32_e32 v6, v8, v6
	v_mul_f32_e32 v8, v7, v6
	v_fma_f32 v9, -v2, v8, v7
	v_fmac_f32_e32 v8, v9, v6
	v_fma_f32 v2, -v2, v8, v7
	v_div_fmas_f32 v2, v2, v6, v8
	v_div_fixup_f32 v2, v2, v31, v3
	global_store_dword v[0:1], v2, off
	s_cbranch_scc1 .LBB16_103
.LBB16_104:
	s_endpgm
	.section	.rodata,"a",@progbits
	.p2align	6, 0x0
	.amdhsa_kernel _Z21moe_fused_gate_kernelItLi12ELi96ELi8ELi1EEvPvS0_PfPilllldi
		.amdhsa_group_segment_fixed_size 0
		.amdhsa_private_segment_fixed_size 0
		.amdhsa_kernarg_size 76
		.amdhsa_user_sgpr_count 6
		.amdhsa_user_sgpr_private_segment_buffer 1
		.amdhsa_user_sgpr_dispatch_ptr 0
		.amdhsa_user_sgpr_queue_ptr 0
		.amdhsa_user_sgpr_kernarg_segment_ptr 1
		.amdhsa_user_sgpr_dispatch_id 0
		.amdhsa_user_sgpr_flat_scratch_init 0
		.amdhsa_user_sgpr_kernarg_preload_length 0
		.amdhsa_user_sgpr_kernarg_preload_offset 0
		.amdhsa_user_sgpr_private_segment_size 0
		.amdhsa_uses_dynamic_stack 0
		.amdhsa_system_sgpr_private_segment_wavefront_offset 0
		.amdhsa_system_sgpr_workgroup_id_x 1
		.amdhsa_system_sgpr_workgroup_id_y 0
		.amdhsa_system_sgpr_workgroup_id_z 0
		.amdhsa_system_sgpr_workgroup_info 0
		.amdhsa_system_vgpr_workitem_id 1
		.amdhsa_next_free_vgpr 49
		.amdhsa_next_free_sgpr 52
		.amdhsa_accum_offset 52
		.amdhsa_reserve_vcc 1
		.amdhsa_reserve_flat_scratch 0
		.amdhsa_float_round_mode_32 0
		.amdhsa_float_round_mode_16_64 0
		.amdhsa_float_denorm_mode_32 3
		.amdhsa_float_denorm_mode_16_64 3
		.amdhsa_dx10_clamp 1
		.amdhsa_ieee_mode 1
		.amdhsa_fp16_overflow 0
		.amdhsa_tg_split 0
		.amdhsa_exception_fp_ieee_invalid_op 0
		.amdhsa_exception_fp_denorm_src 0
		.amdhsa_exception_fp_ieee_div_zero 0
		.amdhsa_exception_fp_ieee_overflow 0
		.amdhsa_exception_fp_ieee_underflow 0
		.amdhsa_exception_fp_ieee_inexact 0
		.amdhsa_exception_int_div_zero 0
	.end_amdhsa_kernel
	.section	.text._Z21moe_fused_gate_kernelItLi12ELi96ELi8ELi1EEvPvS0_PfPilllldi,"axG",@progbits,_Z21moe_fused_gate_kernelItLi12ELi96ELi8ELi1EEvPvS0_PfPilllldi,comdat
.Lfunc_end16:
	.size	_Z21moe_fused_gate_kernelItLi12ELi96ELi8ELi1EEvPvS0_PfPilllldi, .Lfunc_end16-_Z21moe_fused_gate_kernelItLi12ELi96ELi8ELi1EEvPvS0_PfPilllldi
                                        ; -- End function
	.section	.AMDGPU.csdata,"",@progbits
; Kernel info:
; codeLenInByte = 6228
; NumSgprs: 56
; NumVgprs: 49
; NumAgprs: 0
; TotalNumVgprs: 49
; ScratchSize: 0
; MemoryBound: 0
; FloatMode: 240
; IeeeMode: 1
; LDSByteSize: 0 bytes/workgroup (compile time only)
; SGPRBlocks: 6
; VGPRBlocks: 6
; NumSGPRsForWavesPerEU: 56
; NumVGPRsForWavesPerEU: 49
; AccumOffset: 52
; Occupancy: 8
; WaveLimiterHint : 0
; COMPUTE_PGM_RSRC2:SCRATCH_EN: 0
; COMPUTE_PGM_RSRC2:USER_SGPR: 6
; COMPUTE_PGM_RSRC2:TRAP_HANDLER: 0
; COMPUTE_PGM_RSRC2:TGID_X_EN: 1
; COMPUTE_PGM_RSRC2:TGID_Y_EN: 0
; COMPUTE_PGM_RSRC2:TGID_Z_EN: 0
; COMPUTE_PGM_RSRC2:TIDIG_COMP_CNT: 1
; COMPUTE_PGM_RSRC3_GFX90A:ACCUM_OFFSET: 12
; COMPUTE_PGM_RSRC3_GFX90A:TG_SPLIT: 0
	.section	.text._Z21moe_fused_gate_kernelIDF16_Li12ELi96ELi8ELi1EEvPvS0_PfPilllldi,"axG",@progbits,_Z21moe_fused_gate_kernelIDF16_Li12ELi96ELi8ELi1EEvPvS0_PfPilllldi,comdat
	.protected	_Z21moe_fused_gate_kernelIDF16_Li12ELi96ELi8ELi1EEvPvS0_PfPilllldi ; -- Begin function _Z21moe_fused_gate_kernelIDF16_Li12ELi96ELi8ELi1EEvPvS0_PfPilllldi
	.globl	_Z21moe_fused_gate_kernelIDF16_Li12ELi96ELi8ELi1EEvPvS0_PfPilllldi
	.p2align	8
	.type	_Z21moe_fused_gate_kernelIDF16_Li12ELi96ELi8ELi1EEvPvS0_PfPilllldi,@function
_Z21moe_fused_gate_kernelIDF16_Li12ELi96ELi8ELi1EEvPvS0_PfPilllldi: ; @_Z21moe_fused_gate_kernelIDF16_Li12ELi96ELi8ELi1EEvPvS0_PfPilllldi
; %bb.0:
	s_load_dwordx16 s[36:51], s[4:5], 0x0
	v_and_b32_e32 v1, 0x3ff, v0
	v_bfe_u32 v0, v0, 10, 10
	v_add_u32_e32 v0, s6, v0
	v_lshrrev_b32_e32 v24, 3, v1
	v_mov_b32_e32 v30, 0
	v_lshl_add_u32 v8, v0, 3, v24
	v_mov_b32_e32 v9, v30
	s_waitcnt lgkmcnt(0)
	v_cmp_gt_i64_e32 vcc, s[44:45], v[8:9]
	s_and_saveexec_b64 s[0:1], vcc
	s_cbranch_execz .LBB17_104
; %bb.1:
	v_and_b32_e32 v28, 7, v1
	v_mov_b32_e32 v2, s36
	v_mov_b32_e32 v3, s37
	s_movk_i32 s0, 0xc0
	v_mul_u32_u24_e32 v29, 12, v28
	v_mad_u64_u32 v[2:3], s[0:1], v8, s0, v[2:3]
	v_lshlrev_b32_e32 v12, 1, v29
	v_add_co_u32_e32 v10, vcc, v2, v12
	v_addc_co_u32_e32 v11, vcc, 0, v3, vcc
	global_load_dwordx2 v[16:17], v[10:11], off offset:16
	global_load_dwordx4 v[4:7], v[10:11], off
	global_load_dwordx2 v[14:15], v12, s[38:39] offset:16
	global_load_dwordx4 v[0:3], v12, s[38:39]
	s_waitcnt vmcnt(2)
	v_cmp_o_f16_e32 vcc, v4, v4
	s_and_saveexec_b64 s[0:1], vcc
	s_cbranch_execz .LBB17_3
; %bb.2:
	v_cvt_f32_f16_e64 v10, -v4
	s_mov_b32 s2, 0x3fb8aa3b
	s_mov_b32 s3, 0x32a5705f
	v_mul_f32_e32 v11, 0x3fb8aa3b, v10
	v_rndne_f32_e32 v12, v11
	v_fma_mix_f32 v13, -v4, s2, -v11 op_sel_hi:[1,0,0]
	v_sub_f32_e32 v11, v11, v12
	v_fma_mix_f32 v13, -v4, s3, v13 op_sel_hi:[1,0,0]
	v_add_f32_e32 v11, v11, v13
	v_cvt_i32_f32_e32 v12, v12
	v_exp_f32_e32 v11, v11
	s_mov_b32 s2, 0xc2ce8ed0
	v_cmp_ngt_f32_e32 vcc, s2, v10
	s_mov_b32 s2, 0x42b17218
	v_ldexp_f32 v11, v11, v12
	v_cndmask_b32_e32 v11, 0, v11, vcc
	v_mov_b32_e32 v12, 0x7f800000
	v_cmp_nlt_f32_e32 vcc, s2, v10
	v_cndmask_b32_e32 v10, v12, v11, vcc
	v_add_f32_e32 v10, 1.0, v10
	v_div_scale_f32 v11, s[2:3], v10, v10, 1.0
	v_rcp_f32_e32 v12, v11
	v_fma_f32 v13, -v11, v12, 1.0
	v_fmac_f32_e32 v12, v13, v12
	v_div_scale_f32 v13, vcc, 1.0, v10, 1.0
	v_mul_f32_e32 v18, v13, v12
	v_fma_f32 v19, -v11, v18, v13
	v_fmac_f32_e32 v18, v19, v12
	v_fma_f32 v11, -v11, v18, v13
	v_div_fmas_f32 v11, v11, v12, v18
	v_div_fixup_f32 v30, v11, v10, 1.0
.LBB17_3:
	s_or_b64 exec, exec, s[0:1]
	v_lshrrev_b32_e32 v10, 16, v4
	v_cmp_o_f16_e32 vcc, v10, v10
	v_mov_b32_e32 v4, 0
	v_mov_b32_e32 v31, 0
	s_and_saveexec_b64 s[0:1], vcc
	s_cbranch_execz .LBB17_5
; %bb.4:
	v_cvt_f32_f16_e64 v11, -v10
	s_mov_b32 s2, 0x3fb8aa3b
	s_mov_b32 s3, 0x32a5705f
	v_mul_f32_e32 v12, 0x3fb8aa3b, v11
	v_rndne_f32_e32 v13, v12
	v_fma_mix_f32 v18, -v10, s2, -v12 op_sel_hi:[1,0,0]
	v_sub_f32_e32 v12, v12, v13
	v_fma_mix_f32 v10, -v10, s3, v18 op_sel_hi:[1,0,0]
	v_add_f32_e32 v10, v12, v10
	v_cvt_i32_f32_e32 v12, v13
	v_exp_f32_e32 v10, v10
	s_mov_b32 s2, 0xc2ce8ed0
	v_cmp_ngt_f32_e32 vcc, s2, v11
	s_mov_b32 s2, 0x42b17218
	v_ldexp_f32 v10, v10, v12
	v_cndmask_b32_e32 v10, 0, v10, vcc
	v_mov_b32_e32 v12, 0x7f800000
	v_cmp_nlt_f32_e32 vcc, s2, v11
	v_cndmask_b32_e32 v10, v12, v10, vcc
	v_add_f32_e32 v10, 1.0, v10
	v_div_scale_f32 v11, s[2:3], v10, v10, 1.0
	v_rcp_f32_e32 v12, v11
	v_fma_f32 v13, -v11, v12, 1.0
	v_fmac_f32_e32 v12, v13, v12
	v_div_scale_f32 v13, vcc, 1.0, v10, 1.0
	v_mul_f32_e32 v18, v13, v12
	v_fma_f32 v19, -v11, v18, v13
	v_fmac_f32_e32 v18, v19, v12
	v_fma_f32 v11, -v11, v18, v13
	v_div_fmas_f32 v11, v11, v12, v18
	v_div_fixup_f32 v31, v11, v10, 1.0
.LBB17_5:
	s_or_b64 exec, exec, s[0:1]
	v_cmp_o_f16_e32 vcc, v5, v5
	s_and_saveexec_b64 s[0:1], vcc
	s_cbranch_execz .LBB17_7
; %bb.6:
	v_cvt_f32_f16_e64 v4, -v5
	s_mov_b32 s2, 0x3fb8aa3b
	s_mov_b32 s3, 0x32a5705f
	v_mul_f32_e32 v10, 0x3fb8aa3b, v4
	v_rndne_f32_e32 v11, v10
	v_fma_mix_f32 v12, -v5, s2, -v10 op_sel_hi:[1,0,0]
	v_sub_f32_e32 v10, v10, v11
	v_fma_mix_f32 v12, -v5, s3, v12 op_sel_hi:[1,0,0]
	v_add_f32_e32 v10, v10, v12
	v_cvt_i32_f32_e32 v11, v11
	v_exp_f32_e32 v10, v10
	s_mov_b32 s2, 0xc2ce8ed0
	v_cmp_ngt_f32_e32 vcc, s2, v4
	s_mov_b32 s2, 0x42b17218
	v_ldexp_f32 v10, v10, v11
	v_cndmask_b32_e32 v10, 0, v10, vcc
	v_mov_b32_e32 v11, 0x7f800000
	v_cmp_nlt_f32_e32 vcc, s2, v4
	v_cndmask_b32_e32 v4, v11, v10, vcc
	v_add_f32_e32 v4, 1.0, v4
	v_div_scale_f32 v10, s[2:3], v4, v4, 1.0
	v_rcp_f32_e32 v11, v10
	v_fma_f32 v12, -v10, v11, 1.0
	v_fmac_f32_e32 v11, v12, v11
	v_div_scale_f32 v12, vcc, 1.0, v4, 1.0
	v_mul_f32_e32 v13, v12, v11
	v_fma_f32 v18, -v10, v13, v12
	v_fmac_f32_e32 v13, v18, v11
	v_fma_f32 v10, -v10, v13, v12
	v_div_fmas_f32 v10, v10, v11, v13
	v_div_fixup_f32 v4, v10, v4, 1.0
.LBB17_7:
	s_or_b64 exec, exec, s[0:1]
	v_lshrrev_b32_e32 v11, 16, v5
	v_cmp_o_f16_e32 vcc, v11, v11
	v_mov_b32_e32 v10, 0
	v_mov_b32_e32 v5, 0
	s_and_saveexec_b64 s[0:1], vcc
	s_cbranch_execz .LBB17_9
; %bb.8:
	v_cvt_f32_f16_e64 v5, -v11
	s_mov_b32 s2, 0x3fb8aa3b
	s_mov_b32 s3, 0x32a5705f
	v_mul_f32_e32 v12, 0x3fb8aa3b, v5
	v_rndne_f32_e32 v13, v12
	v_fma_mix_f32 v18, -v11, s2, -v12 op_sel_hi:[1,0,0]
	v_sub_f32_e32 v12, v12, v13
	v_fma_mix_f32 v11, -v11, s3, v18 op_sel_hi:[1,0,0]
	v_add_f32_e32 v11, v12, v11
	v_cvt_i32_f32_e32 v12, v13
	v_exp_f32_e32 v11, v11
	s_mov_b32 s2, 0xc2ce8ed0
	v_cmp_ngt_f32_e32 vcc, s2, v5
	s_mov_b32 s2, 0x42b17218
	v_ldexp_f32 v11, v11, v12
	v_cndmask_b32_e32 v11, 0, v11, vcc
	v_mov_b32_e32 v12, 0x7f800000
	v_cmp_nlt_f32_e32 vcc, s2, v5
	v_cndmask_b32_e32 v5, v12, v11, vcc
	v_add_f32_e32 v5, 1.0, v5
	v_div_scale_f32 v11, s[2:3], v5, v5, 1.0
	v_rcp_f32_e32 v12, v11
	v_fma_f32 v13, -v11, v12, 1.0
	v_fmac_f32_e32 v12, v13, v12
	v_div_scale_f32 v13, vcc, 1.0, v5, 1.0
	v_mul_f32_e32 v18, v13, v12
	v_fma_f32 v19, -v11, v18, v13
	v_fmac_f32_e32 v18, v19, v12
	v_fma_f32 v11, -v11, v18, v13
	v_div_fmas_f32 v11, v11, v12, v18
	v_div_fixup_f32 v5, v11, v5, 1.0
.LBB17_9:
	s_or_b64 exec, exec, s[0:1]
	v_cmp_o_f16_e32 vcc, v6, v6
	s_and_saveexec_b64 s[0:1], vcc
	s_cbranch_execz .LBB17_11
; %bb.10:
	v_cvt_f32_f16_e64 v10, -v6
	s_mov_b32 s2, 0x3fb8aa3b
	s_mov_b32 s3, 0x32a5705f
	v_mul_f32_e32 v11, 0x3fb8aa3b, v10
	v_rndne_f32_e32 v12, v11
	v_fma_mix_f32 v13, -v6, s2, -v11 op_sel_hi:[1,0,0]
	v_sub_f32_e32 v11, v11, v12
	v_fma_mix_f32 v13, -v6, s3, v13 op_sel_hi:[1,0,0]
	v_add_f32_e32 v11, v11, v13
	v_cvt_i32_f32_e32 v12, v12
	v_exp_f32_e32 v11, v11
	s_mov_b32 s2, 0xc2ce8ed0
	v_cmp_ngt_f32_e32 vcc, s2, v10
	s_mov_b32 s2, 0x42b17218
	v_ldexp_f32 v11, v11, v12
	v_cndmask_b32_e32 v11, 0, v11, vcc
	v_mov_b32_e32 v12, 0x7f800000
	v_cmp_nlt_f32_e32 vcc, s2, v10
	v_cndmask_b32_e32 v10, v12, v11, vcc
	v_add_f32_e32 v10, 1.0, v10
	v_div_scale_f32 v11, s[2:3], v10, v10, 1.0
	v_rcp_f32_e32 v12, v11
	v_fma_f32 v13, -v11, v12, 1.0
	v_fmac_f32_e32 v12, v13, v12
	v_div_scale_f32 v13, vcc, 1.0, v10, 1.0
	v_mul_f32_e32 v18, v13, v12
	v_fma_f32 v19, -v11, v18, v13
	v_fmac_f32_e32 v18, v19, v12
	v_fma_f32 v11, -v11, v18, v13
	v_div_fmas_f32 v11, v11, v12, v18
	v_div_fixup_f32 v10, v11, v10, 1.0
.LBB17_11:
	s_or_b64 exec, exec, s[0:1]
	v_lshrrev_b32_e32 v12, 16, v6
	v_cmp_o_f16_e32 vcc, v12, v12
	v_mov_b32_e32 v6, 0
	v_mov_b32_e32 v11, 0
	s_and_saveexec_b64 s[0:1], vcc
	s_cbranch_execz .LBB17_13
; %bb.12:
	v_cvt_f32_f16_e64 v11, -v12
	s_mov_b32 s2, 0x3fb8aa3b
	s_mov_b32 s3, 0x32a5705f
	v_mul_f32_e32 v13, 0x3fb8aa3b, v11
	v_rndne_f32_e32 v18, v13
	v_fma_mix_f32 v19, -v12, s2, -v13 op_sel_hi:[1,0,0]
	v_sub_f32_e32 v13, v13, v18
	v_fma_mix_f32 v12, -v12, s3, v19 op_sel_hi:[1,0,0]
	v_add_f32_e32 v12, v13, v12
	v_cvt_i32_f32_e32 v13, v18
	v_exp_f32_e32 v12, v12
	s_mov_b32 s2, 0xc2ce8ed0
	v_cmp_ngt_f32_e32 vcc, s2, v11
	s_mov_b32 s2, 0x42b17218
	v_ldexp_f32 v12, v12, v13
	v_cndmask_b32_e32 v12, 0, v12, vcc
	v_mov_b32_e32 v13, 0x7f800000
	v_cmp_nlt_f32_e32 vcc, s2, v11
	v_cndmask_b32_e32 v11, v13, v12, vcc
	v_add_f32_e32 v11, 1.0, v11
	v_div_scale_f32 v12, s[2:3], v11, v11, 1.0
	v_rcp_f32_e32 v13, v12
	v_fma_f32 v18, -v12, v13, 1.0
	v_fmac_f32_e32 v13, v18, v13
	v_div_scale_f32 v18, vcc, 1.0, v11, 1.0
	v_mul_f32_e32 v19, v18, v13
	v_fma_f32 v20, -v12, v19, v18
	v_fmac_f32_e32 v19, v20, v13
	v_fma_f32 v12, -v12, v19, v18
	v_div_fmas_f32 v12, v12, v13, v19
	v_div_fixup_f32 v11, v12, v11, 1.0
.LBB17_13:
	s_or_b64 exec, exec, s[0:1]
	v_cmp_o_f16_e32 vcc, v7, v7
	s_and_saveexec_b64 s[0:1], vcc
	s_cbranch_execz .LBB17_15
; %bb.14:
	v_cvt_f32_f16_e64 v6, -v7
	s_mov_b32 s2, 0x3fb8aa3b
	s_mov_b32 s3, 0x32a5705f
	v_mul_f32_e32 v12, 0x3fb8aa3b, v6
	v_rndne_f32_e32 v13, v12
	v_fma_mix_f32 v18, -v7, s2, -v12 op_sel_hi:[1,0,0]
	v_sub_f32_e32 v12, v12, v13
	v_fma_mix_f32 v18, -v7, s3, v18 op_sel_hi:[1,0,0]
	v_add_f32_e32 v12, v12, v18
	v_cvt_i32_f32_e32 v13, v13
	v_exp_f32_e32 v12, v12
	s_mov_b32 s2, 0xc2ce8ed0
	v_cmp_ngt_f32_e32 vcc, s2, v6
	s_mov_b32 s2, 0x42b17218
	v_ldexp_f32 v12, v12, v13
	v_cndmask_b32_e32 v12, 0, v12, vcc
	v_mov_b32_e32 v13, 0x7f800000
	v_cmp_nlt_f32_e32 vcc, s2, v6
	v_cndmask_b32_e32 v6, v13, v12, vcc
	v_add_f32_e32 v6, 1.0, v6
	v_div_scale_f32 v12, s[2:3], v6, v6, 1.0
	v_rcp_f32_e32 v13, v12
	v_fma_f32 v18, -v12, v13, 1.0
	v_fmac_f32_e32 v13, v18, v13
	v_div_scale_f32 v18, vcc, 1.0, v6, 1.0
	v_mul_f32_e32 v19, v18, v13
	v_fma_f32 v20, -v12, v19, v18
	v_fmac_f32_e32 v19, v20, v13
	v_fma_f32 v12, -v12, v19, v18
	v_div_fmas_f32 v12, v12, v13, v19
	v_div_fixup_f32 v6, v12, v6, 1.0
.LBB17_15:
	s_or_b64 exec, exec, s[0:1]
	v_lshrrev_b32_e32 v13, 16, v7
	v_cmp_o_f16_e32 vcc, v13, v13
	v_mov_b32_e32 v12, 0
	v_mov_b32_e32 v7, 0
	s_and_saveexec_b64 s[0:1], vcc
	s_cbranch_execz .LBB17_17
; %bb.16:
	v_cvt_f32_f16_e64 v7, -v13
	s_mov_b32 s2, 0x3fb8aa3b
	s_mov_b32 s3, 0x32a5705f
	v_mul_f32_e32 v18, 0x3fb8aa3b, v7
	v_rndne_f32_e32 v19, v18
	v_fma_mix_f32 v20, -v13, s2, -v18 op_sel_hi:[1,0,0]
	v_sub_f32_e32 v18, v18, v19
	v_fma_mix_f32 v13, -v13, s3, v20 op_sel_hi:[1,0,0]
	v_add_f32_e32 v13, v18, v13
	v_cvt_i32_f32_e32 v18, v19
	v_exp_f32_e32 v13, v13
	s_mov_b32 s2, 0xc2ce8ed0
	v_cmp_ngt_f32_e32 vcc, s2, v7
	s_mov_b32 s2, 0x42b17218
	v_ldexp_f32 v13, v13, v18
	v_cndmask_b32_e32 v13, 0, v13, vcc
	v_mov_b32_e32 v18, 0x7f800000
	v_cmp_nlt_f32_e32 vcc, s2, v7
	v_cndmask_b32_e32 v7, v18, v13, vcc
	v_add_f32_e32 v7, 1.0, v7
	v_div_scale_f32 v13, s[2:3], v7, v7, 1.0
	v_rcp_f32_e32 v18, v13
	v_fma_f32 v19, -v13, v18, 1.0
	v_fmac_f32_e32 v18, v19, v18
	v_div_scale_f32 v19, vcc, 1.0, v7, 1.0
	v_mul_f32_e32 v20, v19, v18
	v_fma_f32 v21, -v13, v20, v19
	v_fmac_f32_e32 v20, v21, v18
	v_fma_f32 v13, -v13, v20, v19
	v_div_fmas_f32 v13, v13, v18, v20
	v_div_fixup_f32 v7, v13, v7, 1.0
.LBB17_17:
	s_or_b64 exec, exec, s[0:1]
	v_cmp_o_f16_e32 vcc, v16, v16
	s_and_saveexec_b64 s[0:1], vcc
	s_cbranch_execz .LBB17_19
; %bb.18:
	v_cvt_f32_f16_e64 v12, -v16
	s_mov_b32 s2, 0x3fb8aa3b
	s_mov_b32 s3, 0x32a5705f
	v_mul_f32_e32 v13, 0x3fb8aa3b, v12
	v_rndne_f32_e32 v18, v13
	v_fma_mix_f32 v19, -v16, s2, -v13 op_sel_hi:[1,0,0]
	v_sub_f32_e32 v13, v13, v18
	v_fma_mix_f32 v19, -v16, s3, v19 op_sel_hi:[1,0,0]
	v_add_f32_e32 v13, v13, v19
	v_cvt_i32_f32_e32 v18, v18
	v_exp_f32_e32 v13, v13
	s_mov_b32 s2, 0xc2ce8ed0
	v_cmp_ngt_f32_e32 vcc, s2, v12
	s_mov_b32 s2, 0x42b17218
	v_ldexp_f32 v13, v13, v18
	v_cndmask_b32_e32 v13, 0, v13, vcc
	v_mov_b32_e32 v18, 0x7f800000
	v_cmp_nlt_f32_e32 vcc, s2, v12
	v_cndmask_b32_e32 v12, v18, v13, vcc
	v_add_f32_e32 v12, 1.0, v12
	v_div_scale_f32 v13, s[2:3], v12, v12, 1.0
	v_rcp_f32_e32 v18, v13
	v_fma_f32 v19, -v13, v18, 1.0
	v_fmac_f32_e32 v18, v19, v18
	v_div_scale_f32 v19, vcc, 1.0, v12, 1.0
	v_mul_f32_e32 v20, v19, v18
	v_fma_f32 v21, -v13, v20, v19
	v_fmac_f32_e32 v20, v21, v18
	v_fma_f32 v13, -v13, v20, v19
	v_div_fmas_f32 v13, v13, v18, v20
	v_div_fixup_f32 v12, v13, v12, 1.0
.LBB17_19:
	s_or_b64 exec, exec, s[0:1]
	v_lshrrev_b32_e32 v18, 16, v16
	v_cmp_o_f16_e32 vcc, v18, v18
	v_mov_b32_e32 v16, 0
	v_mov_b32_e32 v13, 0
	s_and_saveexec_b64 s[0:1], vcc
	s_cbranch_execz .LBB17_21
; %bb.20:
	v_cvt_f32_f16_e64 v13, -v18
	s_mov_b32 s2, 0x3fb8aa3b
	s_mov_b32 s3, 0x32a5705f
	v_mul_f32_e32 v19, 0x3fb8aa3b, v13
	v_rndne_f32_e32 v20, v19
	v_fma_mix_f32 v21, -v18, s2, -v19 op_sel_hi:[1,0,0]
	v_sub_f32_e32 v19, v19, v20
	v_fma_mix_f32 v18, -v18, s3, v21 op_sel_hi:[1,0,0]
	v_add_f32_e32 v18, v19, v18
	v_cvt_i32_f32_e32 v19, v20
	v_exp_f32_e32 v18, v18
	s_mov_b32 s2, 0xc2ce8ed0
	v_cmp_ngt_f32_e32 vcc, s2, v13
	s_mov_b32 s2, 0x42b17218
	v_ldexp_f32 v18, v18, v19
	v_cndmask_b32_e32 v18, 0, v18, vcc
	v_mov_b32_e32 v19, 0x7f800000
	v_cmp_nlt_f32_e32 vcc, s2, v13
	v_cndmask_b32_e32 v13, v19, v18, vcc
	v_add_f32_e32 v13, 1.0, v13
	v_div_scale_f32 v18, s[2:3], v13, v13, 1.0
	v_rcp_f32_e32 v19, v18
	v_fma_f32 v20, -v18, v19, 1.0
	v_fmac_f32_e32 v19, v20, v19
	v_div_scale_f32 v20, vcc, 1.0, v13, 1.0
	v_mul_f32_e32 v21, v20, v19
	v_fma_f32 v22, -v18, v21, v20
	v_fmac_f32_e32 v21, v22, v19
	v_fma_f32 v18, -v18, v21, v20
	v_div_fmas_f32 v18, v18, v19, v21
	v_div_fixup_f32 v13, v18, v13, 1.0
.LBB17_21:
	s_or_b64 exec, exec, s[0:1]
	v_cmp_o_f16_e32 vcc, v17, v17
	s_and_saveexec_b64 s[0:1], vcc
	s_cbranch_execz .LBB17_23
; %bb.22:
	v_cvt_f32_f16_e64 v16, -v17
	s_mov_b32 s2, 0x3fb8aa3b
	s_mov_b32 s3, 0x32a5705f
	v_mul_f32_e32 v18, 0x3fb8aa3b, v16
	v_rndne_f32_e32 v19, v18
	v_fma_mix_f32 v20, -v17, s2, -v18 op_sel_hi:[1,0,0]
	v_sub_f32_e32 v18, v18, v19
	v_fma_mix_f32 v20, -v17, s3, v20 op_sel_hi:[1,0,0]
	v_add_f32_e32 v18, v18, v20
	v_cvt_i32_f32_e32 v19, v19
	v_exp_f32_e32 v18, v18
	s_mov_b32 s2, 0xc2ce8ed0
	v_cmp_ngt_f32_e32 vcc, s2, v16
	s_mov_b32 s2, 0x42b17218
	v_ldexp_f32 v18, v18, v19
	v_cndmask_b32_e32 v18, 0, v18, vcc
	v_mov_b32_e32 v19, 0x7f800000
	v_cmp_nlt_f32_e32 vcc, s2, v16
	v_cndmask_b32_e32 v16, v19, v18, vcc
	v_add_f32_e32 v16, 1.0, v16
	v_div_scale_f32 v18, s[2:3], v16, v16, 1.0
	v_rcp_f32_e32 v19, v18
	v_fma_f32 v20, -v18, v19, 1.0
	v_fmac_f32_e32 v19, v20, v19
	v_div_scale_f32 v20, vcc, 1.0, v16, 1.0
	v_mul_f32_e32 v21, v20, v19
	v_fma_f32 v22, -v18, v21, v20
	v_fmac_f32_e32 v21, v22, v19
	v_fma_f32 v18, -v18, v21, v20
	v_div_fmas_f32 v18, v18, v19, v21
	v_div_fixup_f32 v16, v18, v16, 1.0
.LBB17_23:
	s_or_b64 exec, exec, s[0:1]
	v_lshrrev_b32_e32 v18, 16, v17
	v_cmp_o_f16_e32 vcc, v18, v18
	v_mov_b32_e32 v17, 0
	s_and_saveexec_b64 s[0:1], vcc
	s_cbranch_execz .LBB17_25
; %bb.24:
	v_cvt_f32_f16_e64 v17, -v18
	s_mov_b32 s2, 0x3fb8aa3b
	s_mov_b32 s3, 0x32a5705f
	v_mul_f32_e32 v19, 0x3fb8aa3b, v17
	v_rndne_f32_e32 v20, v19
	v_fma_mix_f32 v21, -v18, s2, -v19 op_sel_hi:[1,0,0]
	v_sub_f32_e32 v19, v19, v20
	v_fma_mix_f32 v18, -v18, s3, v21 op_sel_hi:[1,0,0]
	v_add_f32_e32 v18, v19, v18
	v_cvt_i32_f32_e32 v19, v20
	v_exp_f32_e32 v18, v18
	s_mov_b32 s2, 0xc2ce8ed0
	v_cmp_ngt_f32_e32 vcc, s2, v17
	s_mov_b32 s2, 0x42b17218
	v_ldexp_f32 v18, v18, v19
	v_cndmask_b32_e32 v18, 0, v18, vcc
	v_mov_b32_e32 v19, 0x7f800000
	v_cmp_nlt_f32_e32 vcc, s2, v17
	v_cndmask_b32_e32 v17, v19, v18, vcc
	v_add_f32_e32 v17, 1.0, v17
	v_div_scale_f32 v18, s[2:3], v17, v17, 1.0
	v_rcp_f32_e32 v19, v18
	v_fma_f32 v20, -v18, v19, 1.0
	v_fmac_f32_e32 v19, v20, v19
	v_div_scale_f32 v20, vcc, 1.0, v17, 1.0
	v_mul_f32_e32 v21, v20, v19
	v_fma_f32 v22, -v18, v21, v20
	v_fmac_f32_e32 v21, v22, v19
	v_fma_f32 v18, -v18, v21, v20
	v_div_fmas_f32 v18, v18, v19, v21
	v_div_fixup_f32 v17, v18, v17, 1.0
.LBB17_25:
	s_or_b64 exec, exec, s[0:1]
	s_waitcnt vmcnt(0)
	v_cvt_f32_f16_e32 v18, v0
	v_cvt_f32_f16_sdwa v0, v0 dst_sel:DWORD dst_unused:UNUSED_PAD src0_sel:WORD_1
	s_mov_b32 s2, 0xff7fffff
	v_add_f32_e32 v33, v30, v18
	v_add_f32_e32 v34, v31, v0
	v_max_f32_e32 v0, 0xff7fffff, v33
	v_cmp_ngt_f32_e32 vcc, v34, v0
	v_mov_b32_e32 v18, v0
	v_mov_b32_e32 v19, v34
	s_and_saveexec_b64 s[0:1], vcc
	s_cbranch_execz .LBB17_29
; %bb.26:
	v_cmp_lt_f32_e32 vcc, s2, v34
	v_mov_b32_e32 v18, 0xff7fffff
	s_and_saveexec_b64 s[2:3], vcc
; %bb.27:
	v_mov_b32_e32 v18, v34
; %bb.28:
	s_or_b64 exec, exec, s[2:3]
	v_mov_b32_e32 v19, v0
.LBB17_29:
	s_or_b64 exec, exec, s[0:1]
	v_cvt_f32_f16_sdwa v21, v1 dst_sel:DWORD dst_unused:UNUSED_PAD src0_sel:WORD_1
	v_cvt_f32_f16_e32 v20, v1
	v_mov_b32_e32 v22, v19
	v_pk_add_f32 v[0:1], v[4:5], v[20:21]
	v_cmp_ngt_f32_e32 vcc, v0, v19
	v_mov_b32_e32 v23, v0
	s_and_saveexec_b64 s[0:1], vcc
	s_cbranch_execz .LBB17_33
; %bb.30:
	v_cmp_gt_f32_e32 vcc, v0, v18
	s_and_saveexec_b64 s[2:3], vcc
; %bb.31:
	v_mov_b32_e32 v18, v0
; %bb.32:
	s_or_b64 exec, exec, s[2:3]
	v_mov_b32_e32 v22, v18
	v_mov_b32_e32 v23, v19
.LBB17_33:
	s_or_b64 exec, exec, s[0:1]
	v_cmp_ngt_f32_e32 vcc, v1, v23
	v_mov_b32_e32 v21, v23
	v_mov_b32_e32 v20, v1
	s_and_saveexec_b64 s[0:1], vcc
	s_cbranch_execz .LBB17_37
; %bb.34:
	v_cmp_gt_f32_e32 vcc, v1, v22
	s_and_saveexec_b64 s[2:3], vcc
; %bb.35:
	v_mov_b32_e32 v22, v1
; %bb.36:
	s_or_b64 exec, exec, s[2:3]
	v_mov_b32_e32 v21, v22
	v_mov_b32_e32 v20, v23
.LBB17_37:
	s_or_b64 exec, exec, s[0:1]
	v_cvt_f32_f16_sdwa v19, v2 dst_sel:DWORD dst_unused:UNUSED_PAD src0_sel:WORD_1
	v_cvt_f32_f16_e32 v18, v2
	v_mov_b32_e32 v2, v20
	v_pk_add_f32 v[18:19], v[10:11], v[18:19]
	v_cmp_ngt_f32_e32 vcc, v18, v20
	v_mov_b32_e32 v22, v18
	s_and_saveexec_b64 s[0:1], vcc
	s_cbranch_execz .LBB17_41
; %bb.38:
	v_cmp_gt_f32_e32 vcc, v18, v21
	s_and_saveexec_b64 s[2:3], vcc
; %bb.39:
	v_mov_b32_e32 v21, v18
; %bb.40:
	s_or_b64 exec, exec, s[2:3]
	v_mov_b32_e32 v2, v21
	v_mov_b32_e32 v22, v20
.LBB17_41:
	s_or_b64 exec, exec, s[0:1]
	v_cmp_ngt_f32_e32 vcc, v19, v22
	v_mov_b32_e32 v21, v22
	v_mov_b32_e32 v20, v19
	s_and_saveexec_b64 s[0:1], vcc
	s_cbranch_execz .LBB17_45
; %bb.42:
	v_cmp_gt_f32_e32 vcc, v19, v2
	s_and_saveexec_b64 s[2:3], vcc
; %bb.43:
	v_mov_b32_e32 v2, v19
; %bb.44:
	s_or_b64 exec, exec, s[2:3]
	v_mov_b32_e32 v21, v2
	v_mov_b32_e32 v20, v22
.LBB17_45:
	;; [unrolled: 35-line block ×5, first 2 shown]
	s_or_b64 exec, exec, s[0:1]
	v_cmp_lt_i64_e64 s[0:1], s[46:47], 8
	s_and_b64 vcc, exec, s[0:1]
	s_cbranch_vccz .LBB17_72
; %bb.70:
	s_sub_u32 s6, 8, s46
	s_subb_u32 s7, 0, s47
	v_add_f32_e32 v14, v14, v25
	s_mov_b64 s[8:9], 0
	s_mov_b32 s10, 0x2aaaaaab
	v_mov_b32_e32 v15, 0x7f7fffff
.LBB17_71:                              ; =>This Inner Loop Header: Depth=1
	v_mov_b32_dpp v25, v29 quad_perm:[1,0,3,2] row_mask:0xf bank_mask:0xf
	v_mov_b32_dpp v26, v14 quad_perm:[1,0,3,2] row_mask:0xf bank_mask:0xf
	v_cmp_eq_f32_e64 s[0:1], v14, v26
	v_cmp_lt_i32_e64 s[2:3], v29, v25
	v_cmp_lt_f32_e32 vcc, v14, v26
	s_and_b64 s[0:1], s[2:3], s[0:1]
	s_or_b64 vcc, vcc, s[0:1]
	v_cndmask_b32_e32 v26, v26, v14, vcc
	v_cndmask_b32_e32 v25, v25, v29, vcc
	s_nop 0
	v_mov_b32_dpp v32, v26 quad_perm:[2,3,0,1] row_mask:0xf bank_mask:0xf
	v_mov_b32_dpp v27, v25 quad_perm:[2,3,0,1] row_mask:0xf bank_mask:0xf
	v_cmp_eq_f32_e32 vcc, v26, v32
	v_cmp_lt_i32_e64 s[0:1], v25, v27
	s_and_b64 vcc, vcc, s[0:1]
	v_cmp_lt_f32_e64 s[0:1], v26, v32
	v_cndmask_b32_e32 v35, v32, v26, vcc
	s_or_b64 vcc, s[0:1], vcc
	v_cndmask_b32_e64 v26, v35, v26, s[0:1]
	v_cndmask_b32_e32 v25, v27, v25, vcc
	s_add_u32 s8, s8, 1
	v_mov_b32_dpp v32, v26 row_half_mirror row_mask:0xf bank_mask:0xf
	v_mov_b32_dpp v27, v25 row_half_mirror row_mask:0xf bank_mask:0xf
	v_min_i32_e32 v35, v25, v27
	v_cmp_eq_f32_e32 vcc, v26, v32
	v_cndmask_b32_e32 v27, v27, v35, vcc
	v_cmp_lt_f32_e32 vcc, v26, v32
	v_cndmask_b32_e32 v25, v27, v25, vcc
	v_mul_hi_i32 v25, v25, s10
	v_lshrrev_b32_e32 v26, 31, v25
	v_ashrrev_i32_e32 v25, 1, v25
	v_add_u32_e32 v25, v25, v26
	s_addc_u32 s9, s9, 0
	v_cmp_eq_u32_e32 vcc, v28, v25
	v_pk_mov_b32 v[26:27], s[8:9], s[8:9] op_sel:[0,1]
	v_cndmask_b32_e32 v33, v33, v15, vcc
	v_cndmask_b32_e32 v14, v14, v15, vcc
	v_cmp_le_i64_e32 vcc, s[6:7], v[26:27]
	s_cbranch_vccz .LBB17_71
.LBB17_72:
	s_sub_u32 s26, s48, s50
	s_subb_u32 s27, s49, s51
	s_mov_b64 s[0:1], src_shared_base
	s_cmp_lg_u32 0, -1
	s_cselect_b32 s0, s1, 0
	s_cselect_b32 s1, 0, 0
	s_add_u32 s1, s1, 0xff
	s_addc_u32 s0, s0, 0
	s_and_b32 s1, s1, 0xffffff00
	v_mov_b32_e32 v14, s1
	v_mov_b32_e32 v15, s0
	v_lshlrev_b32_e32 v25, 2, v24
	v_mad_u64_u32 v[14:15], s[0:1], v25, s48, v[14:15]
	s_load_dword s33, s[4:5], 0x48
	v_mov_b32_e32 v24, v15
	v_mad_u64_u32 v[24:25], s[0:1], v25, s49, v[24:25]
	v_cmp_lt_i64_e64 s[0:1], s[26:27], 1
	v_mov_b32_e32 v15, v24
	s_and_b64 vcc, exec, s[0:1]
	v_cmp_eq_u32_e64 s[0:1], 0, v28
	s_cbranch_vccnz .LBB17_83
; %bb.73:
	s_waitcnt lgkmcnt(0)
	v_mad_u64_u32 v[24:25], s[2:3], s33, v8, 0
	s_ashr_i32 s6, s33, 31
	v_mov_b32_e32 v26, v25
	v_mad_u64_u32 v[26:27], s[2:3], s6, v8, v[26:27]
	v_mov_b32_e32 v25, v26
	v_lshlrev_b64 v[24:25], 2, v[24:25]
	v_mov_b32_e32 v26, s43
	v_add_co_u32_e32 v24, vcc, s42, v24
	v_addc_co_u32_e32 v25, vcc, v26, v25, vcc
	v_add_u32_e32 v35, 4, v29
	v_add_u32_e32 v36, 5, v29
	;; [unrolled: 1-line block ×8, first 2 shown]
	s_mov_b64 s[28:29], 0
	v_mov_b32_e32 v32, 0
	s_mov_b32 s36, 0x7f7fffff
	s_mov_b32 s37, 0x2aaaaaab
	v_mov_b32_e32 v43, 0xff7fffff
	v_pk_mov_b32 v[26:27], v[14:15], v[14:15] op_sel:[0,1]
	s_branch .LBB17_75
.LBB17_74:                              ;   in Loop: Header=BB17_75 Depth=1
	s_or_b64 exec, exec, s[2:3]
	v_add_co_u32_e32 v24, vcc, 4, v24
	s_add_u32 s28, s28, 1
	v_addc_co_u32_e32 v25, vcc, 0, v25, vcc
	s_addc_u32 s29, s29, 0
	v_add_co_u32_e32 v26, vcc, 4, v26
	v_addc_co_u32_e32 v27, vcc, 0, v27, vcc
	v_pk_mov_b32 v[44:45], s[28:29], s[28:29] op_sel:[0,1]
	v_cmp_le_i64_e32 vcc, s[26:27], v[44:45]
	s_cbranch_vccnz .LBB17_84
.LBB17_75:                              ; =>This Inner Loop Header: Depth=1
	v_cmp_neq_f32_e32 vcc, s36, v33
	v_mov_b32_e32 v44, 0xff7fffff
	v_mov_b32_e32 v45, v29
	s_and_saveexec_b64 s[2:3], vcc
	s_cbranch_execz .LBB17_77
; %bb.76:                               ;   in Loop: Header=BB17_75 Depth=1
	v_cmp_gt_f32_e32 vcc, v34, v33
	v_cndmask_b32_e32 v44, v33, v34, vcc
	v_cndmask_b32_e64 v45, 0, 1, vcc
	v_cmp_gt_f32_e32 vcc, v0, v44
	v_cndmask_b32_e32 v44, v44, v0, vcc
	v_cndmask_b32_e64 v45, v45, 2, vcc
	;; [unrolled: 3-line block ×3, first 2 shown]
	v_cmp_gt_f32_e32 vcc, v18, v44
	v_or_b32_e32 v45, v45, v29
	v_cndmask_b32_e32 v44, v44, v18, vcc
	v_cndmask_b32_e32 v45, v45, v35, vcc
	v_cmp_gt_f32_e32 vcc, v19, v44
	v_cndmask_b32_e32 v44, v44, v19, vcc
	v_cndmask_b32_e32 v45, v45, v36, vcc
	v_cmp_gt_f32_e32 vcc, v2, v44
	;; [unrolled: 3-line block ×7, first 2 shown]
	v_cndmask_b32_e32 v44, v44, v23, vcc
	v_cndmask_b32_e32 v45, v45, v42, vcc
.LBB17_77:                              ;   in Loop: Header=BB17_75 Depth=1
	s_or_b64 exec, exec, s[2:3]
	s_nop 0
	v_mov_b32_dpp v46, v45 quad_perm:[1,0,3,2] row_mask:0xf bank_mask:0xf
	v_mov_b32_dpp v47, v44 quad_perm:[1,0,3,2] row_mask:0xf bank_mask:0xf
	v_cmp_eq_f32_e64 s[2:3], v44, v47
	v_cmp_lt_i32_e64 s[6:7], v45, v46
	v_cmp_gt_f32_e32 vcc, v44, v47
	s_and_b64 s[2:3], s[2:3], s[6:7]
	s_or_b64 vcc, vcc, s[2:3]
	v_cndmask_b32_e32 v44, v47, v44, vcc
	v_cndmask_b32_e32 v45, v46, v45, vcc
	s_nop 0
	v_mov_b32_dpp v47, v44 quad_perm:[2,3,0,1] row_mask:0xf bank_mask:0xf
	v_mov_b32_dpp v46, v45 quad_perm:[2,3,0,1] row_mask:0xf bank_mask:0xf
	v_cmp_eq_f32_e32 vcc, v44, v47
	v_cmp_lt_i32_e64 s[2:3], v45, v46
	s_and_b64 vcc, vcc, s[2:3]
	v_cmp_gt_f32_e64 s[2:3], v44, v47
	v_cndmask_b32_e32 v48, v47, v44, vcc
	s_or_b64 vcc, s[2:3], vcc
	v_cndmask_b32_e64 v44, v48, v44, s[2:3]
	v_cndmask_b32_e32 v45, v46, v45, vcc
	s_nop 0
	v_mov_b32_dpp v47, v44 row_half_mirror row_mask:0xf bank_mask:0xf
	v_mov_b32_dpp v46, v45 row_half_mirror row_mask:0xf bank_mask:0xf
	v_min_i32_e32 v48, v45, v46
	v_cmp_eq_f32_e32 vcc, v44, v47
	v_cndmask_b32_e32 v46, v46, v48, vcc
	v_cmp_gt_f32_e32 vcc, v44, v47
	v_cndmask_b32_e32 v44, v46, v45, vcc
	v_mul_hi_i32 v45, v44, s37
	v_lshrrev_b32_e32 v46, 31, v45
	v_ashrrev_i32_e32 v45, 1, v45
	v_add_u32_e32 v45, v45, v46
	v_cmp_eq_u32_e32 vcc, v28, v45
	s_and_saveexec_b64 s[30:31], vcc
	s_cbranch_execz .LBB17_81
; %bb.78:                               ;   in Loop: Header=BB17_75 Depth=1
	v_sub_u32_e32 v45, v44, v29
	v_cmp_eq_u32_e64 s[18:19], 1, v45
	v_cmp_eq_u32_e64 s[20:21], 3, v45
	;; [unrolled: 1-line block ×9, first 2 shown]
	v_cmp_eq_u32_e32 vcc, 11, v45
	v_cmp_eq_u32_e64 s[2:3], 10, v45
	v_cmp_gt_u32_e64 s[24:25], 12, v45
	s_and_saveexec_b64 s[34:35], s[24:25]
	s_cbranch_execz .LBB17_80
; %bb.79:                               ;   in Loop: Header=BB17_75 Depth=1
	v_cndmask_b32_e64 v46, v30, v31, s[18:19]
	v_cndmask_b32_e64 v46, v46, v4, s[22:23]
	v_cndmask_b32_e64 v46, v46, v5, s[20:21]
	v_cndmask_b32_e64 v46, v46, v10, s[16:17]
	v_cndmask_b32_e64 v46, v46, v11, s[14:15]
	v_cndmask_b32_e64 v46, v46, v6, s[12:13]
	v_cndmask_b32_e64 v46, v46, v7, s[10:11]
	v_cndmask_b32_e64 v46, v46, v12, s[8:9]
	v_cndmask_b32_e64 v46, v46, v13, s[6:7]
	v_cndmask_b32_e64 v46, v46, v16, s[2:3]
	v_cndmask_b32_e32 v46, v46, v17, vcc
	flat_store_dword v[26:27], v46
.LBB17_80:                              ;   in Loop: Header=BB17_75 Depth=1
	s_or_b64 exec, exec, s[34:35]
	v_cmp_ne_u32_e64 s[24:25], 0, v45
	v_cndmask_b32_e64 v33, v43, v33, s[24:25]
	v_cndmask_b32_e64 v34, v34, v43, s[18:19]
	;; [unrolled: 1-line block ×10, first 2 shown]
	v_cndmask_b32_e32 v23, v23, v43, vcc
	v_cndmask_b32_e64 v22, v22, v43, s[2:3]
	global_store_dword v[24:25], v44, off
.LBB17_81:                              ;   in Loop: Header=BB17_75 Depth=1
	s_or_b64 exec, exec, s[30:31]
	s_waitcnt lgkmcnt(0)
	s_barrier
	s_and_saveexec_b64 s[2:3], s[0:1]
	s_cbranch_execz .LBB17_74
; %bb.82:                               ;   in Loop: Header=BB17_75 Depth=1
	flat_load_dword v44, v[26:27]
	s_waitcnt vmcnt(0) lgkmcnt(0)
	v_add_f32_e32 v32, v32, v44
	s_branch .LBB17_74
.LBB17_83:
	v_mov_b32_e32 v32, 0
.LBB17_84:
	v_cmp_eq_u32_e64 s[0:1], 0, v28
	v_cmp_gt_i64_e64 s[2:3], s[50:51], 0
	s_and_b64 s[6:7], s[0:1], s[2:3]
	s_and_saveexec_b64 s[2:3], s[6:7]
	s_cbranch_execz .LBB17_97
; %bb.85:
	v_cmp_le_u64_e32 vcc, s[50:51], v[8:9]
	v_pk_mov_b32 v[0:1], v[8:9], v[8:9] op_sel:[0,1]
	s_and_saveexec_b64 s[6:7], vcc
	s_cbranch_execz .LBB17_87
; %bb.86:
	v_cvt_f32_u32_e32 v0, s50
	s_sub_i32 s8, 0, s50
	v_rcp_iflag_f32_e32 v0, v0
	v_mul_f32_e32 v0, 0x4f7ffffe, v0
	v_cvt_u32_f32_e32 v0, v0
	v_mul_lo_u32 v1, s8, v0
	v_mul_hi_u32 v1, v0, v1
	v_add_u32_e32 v0, v0, v1
	v_mul_hi_u32 v0, v8, v0
	v_mul_lo_u32 v0, v0, s50
	v_sub_u32_e32 v0, v8, v0
	v_subrev_u32_e32 v1, s50, v0
	v_cmp_le_u32_e32 vcc, s50, v0
	v_cndmask_b32_e32 v0, v0, v1, vcc
	v_subrev_u32_e32 v1, s50, v0
	v_cmp_le_u32_e32 vcc, s50, v0
	v_cndmask_b32_e32 v0, v0, v1, vcc
	v_mov_b32_e32 v1, 0
.LBB17_87:
	s_or_b64 exec, exec, s[6:7]
	s_load_dwordx2 s[4:5], s[4:5], 0x40
	v_cvt_f64_f32_e32 v[6:7], v32
	v_pk_mov_b32 v[2:3], s[26:27], s[26:27] op_sel:[0,1]
	s_waitcnt lgkmcnt(0)
	v_mad_u64_u32 v[10:11], s[6:7], s33, v8, v[2:3]
	v_div_scale_f64 v[12:13], s[6:7], s[4:5], s[4:5], v[6:7]
	v_rcp_f64_e32 v[16:17], v[12:13]
	s_ashr_i32 s8, s33, 31
	v_mov_b32_e32 v2, v11
	v_mad_u64_u32 v[2:3], s[6:7], s8, v8, v[2:3]
	v_mov_b32_e32 v11, v2
	v_lshlrev_b64 v[2:3], 2, v[10:11]
	v_fma_f64 v[18:19], -v[12:13], v[16:17], 1.0
	v_mov_b32_e32 v5, s43
	v_add_co_u32_e32 v4, vcc, s42, v2
	v_fmac_f64_e32 v[16:17], v[16:17], v[18:19]
	v_addc_co_u32_e32 v5, vcc, v5, v3, vcc
	v_fma_f64 v[18:19], -v[12:13], v[16:17], 1.0
	v_fmac_f64_e32 v[16:17], v[16:17], v[18:19]
	v_div_scale_f64 v[18:19], vcc, v[6:7], s[4:5], v[6:7]
	v_mul_f64 v[20:21], v[18:19], v[16:17]
	v_fma_f64 v[12:13], -v[12:13], v[20:21], v[18:19]
	v_add_u32_e32 v9, 0x60, v0
	s_nop 0
	v_div_fmas_f64 v[12:13], v[12:13], v[16:17], v[20:21]
	v_div_fixup_f64 v[6:7], v[12:13], s[4:5], v[6:7]
	v_cvt_f32_f64_e32 v6, v[6:7]
	v_mov_b32_e32 v7, s41
	v_add_co_u32_e32 v16, vcc, s40, v2
	v_addc_co_u32_e32 v17, vcc, v7, v3, vcc
	v_cmp_lt_u64_e64 s[4:5], s[50:51], 2
	s_and_b64 vcc, exec, s[4:5]
	global_store_dword v[4:5], v9, off
	global_store_dword v[16:17], v6, off
	s_cbranch_vccnz .LBB17_97
; %bb.88:
	s_cmp_eq_u64 s[50:51], 2
	s_cbranch_scc1 .LBB17_93
; %bb.89:
	v_add_co_u32_e32 v2, vcc, 1, v0
	v_addc_co_u32_e32 v3, vcc, 0, v1, vcc
	s_add_u32 s4, s50, -1
	v_add_co_u32_e32 v12, vcc, 4, v4
	s_addc_u32 s5, s51, -1
	v_addc_co_u32_e32 v13, vcc, 0, v5, vcc
	s_and_b32 s6, s4, -2
	s_mov_b32 s7, s5
	v_add_co_u32_e32 v16, vcc, 4, v16
	v_pk_mov_b32 v[4:5], v[2:3], v[2:3] op_sel:[0,1]
	v_mov_b32_e32 v7, v6
	v_addc_co_u32_e32 v17, vcc, 0, v17, vcc
	s_mov_b64 s[8:9], s[6:7]
	v_pk_mov_b32 v[2:3], v[0:1], v[0:1] op_sel:[0,1]
.LBB17_90:                              ; =>This Inner Loop Header: Depth=1
	v_add_u32_e32 v19, 0x61, v4
	v_add_co_u32_e32 v4, vcc, 2, v4
	v_addc_co_u32_e32 v5, vcc, 0, v5, vcc
	v_add_u32_e32 v18, 0x61, v2
	v_add_co_u32_e32 v2, vcc, 2, v2
	v_addc_co_u32_e32 v3, vcc, 0, v3, vcc
	global_store_dwordx2 v[16:17], v[6:7], off
	v_add_co_u32_e32 v16, vcc, 8, v16
	v_addc_co_u32_e32 v17, vcc, 0, v17, vcc
	s_add_u32 s8, s8, -2
	global_store_dwordx2 v[12:13], v[18:19], off
	s_addc_u32 s9, s9, -1
	v_add_co_u32_e32 v12, vcc, 8, v12
	s_cmp_lg_u64 s[8:9], 0
	v_addc_co_u32_e32 v13, vcc, 0, v13, vcc
	s_cbranch_scc1 .LBB17_90
; %bb.91:
	s_cmp_eq_u64 s[4:5], s[6:7]
	s_cbranch_scc1 .LBB17_94
; %bb.92:
	v_mov_b32_e32 v1, s7
	v_add_co_u32_e32 v10, vcc, s6, v10
	s_or_b32 s4, s4, 1
	v_add_u32_e32 v0, s6, v0
	v_addc_co_u32_e32 v11, vcc, v11, v1, vcc
	s_cbranch_execnz .LBB17_95
	s_branch .LBB17_97
.LBB17_93:
	s_mov_b32 s4, 1
	s_cbranch_execnz .LBB17_95
	s_branch .LBB17_97
.LBB17_94:
	s_mov_b32 s4, 1
                                        ; implicit-def: $vgpr10_vgpr11
                                        ; implicit-def: $vgpr0
	s_branch .LBB17_97
.LBB17_95:
	v_add_u32_e32 v7, 0x61, v0
	v_lshlrev_b64 v[0:1], 2, v[10:11]
	v_add_co_u32_e32 v2, vcc, 4, v0
	v_addc_co_u32_e32 v3, vcc, 0, v1, vcc
	v_mov_b32_e32 v1, s41
	v_add_co_u32_e32 v0, vcc, s40, v2
	v_addc_co_u32_e32 v1, vcc, v1, v3, vcc
	v_mov_b32_e32 v4, s43
	v_add_co_u32_e32 v2, vcc, s42, v2
	s_mov_b32 s5, 0
	v_addc_co_u32_e32 v3, vcc, v4, v3, vcc
	v_pk_mov_b32 v[4:5], s[50:51], s[50:51] op_sel:[0,1]
.LBB17_96:                              ; =>This Inner Loop Header: Depth=1
	global_store_dword v[2:3], v7, off
	global_store_dword v[0:1], v6, off
	v_add_co_u32_e32 v0, vcc, 4, v0
	v_addc_co_u32_e32 v1, vcc, 0, v1, vcc
	s_add_u32 s4, s4, 1
	v_add_co_u32_e32 v2, vcc, 4, v2
	v_addc_co_u32_e32 v3, vcc, 0, v3, vcc
	s_addc_u32 s5, s5, 0
	v_cmp_lt_u64_e32 vcc, s[4:5], v[4:5]
	v_add_u32_e32 v7, 1, v7
	s_cbranch_vccnz .LBB17_96
.LBB17_97:
	s_or_b64 exec, exec, s[2:3]
	v_cmp_gt_i64_e64 s[4:5], s[48:49], 0
	s_mov_b64 s[2:3], 0
	s_and_b64 s[0:1], s[0:1], s[4:5]
	s_waitcnt lgkmcnt(0)
	s_barrier
	s_and_b64 exec, exec, s[0:1]
	s_cbranch_execz .LBB17_104
; %bb.98:
	v_mad_u64_u32 v[0:1], s[0:1], s33, v8, 0
	s_ashr_i32 s4, s33, 31
	v_mov_b32_e32 v2, v1
	v_mad_u64_u32 v[2:3], s[0:1], s4, v8, v[2:3]
	v_mov_b32_e32 v1, v2
	v_lshlrev_b64 v[0:1], 2, v[0:1]
	v_mov_b32_e32 v2, s41
	v_add_co_u32_e32 v4, vcc, s40, v0
	v_addc_co_u32_e32 v5, vcc, v2, v1, vcc
	v_cmp_lt_u64_e64 s[0:1], s[48:49], 8
	s_and_b64 vcc, exec, s[0:1]
	s_cbranch_vccnz .LBB17_101
; %bb.99:
	s_and_b32 s3, s49, 0x7fffffff
	s_and_b32 s2, s48, -8
	s_mov_b64 s[0:1], 0
	s_mov_b64 s[4:5], s[2:3]
.LBB17_100:                             ; =>This Inner Loop Header: Depth=1
	v_mov_b32_e32 v1, s1
	v_add_co_u32_e32 v2, vcc, s0, v14
	v_addc_co_u32_e32 v3, vcc, v15, v1, vcc
	flat_load_dword v6, v[2:3]
	v_add_co_u32_e32 v0, vcc, s0, v4
	v_addc_co_u32_e32 v1, vcc, v5, v1, vcc
	s_add_u32 s0, s0, 32
	s_addc_u32 s1, s1, 0
	s_add_u32 s4, s4, -8
	s_addc_u32 s5, s5, -1
	s_cmp_lg_u64 s[4:5], 0
	s_waitcnt vmcnt(0) lgkmcnt(0)
	v_div_scale_f32 v7, s[6:7], v32, v32, v6
	v_rcp_f32_e32 v9, v7
	v_div_scale_f32 v8, vcc, v6, v32, v6
	v_fma_f32 v10, -v7, v9, 1.0
	v_fmac_f32_e32 v9, v10, v9
	v_mul_f32_e32 v10, v8, v9
	v_fma_f32 v11, -v7, v10, v8
	v_fmac_f32_e32 v10, v11, v9
	v_fma_f32 v7, -v7, v10, v8
	v_div_fmas_f32 v7, v7, v9, v10
	v_div_fixup_f32 v6, v7, v32, v6
	global_store_dword v[0:1], v6, off
	flat_load_dword v6, v[2:3] offset:4
	s_waitcnt vmcnt(0) lgkmcnt(0)
	v_div_scale_f32 v7, s[6:7], v32, v32, v6
	v_rcp_f32_e32 v9, v7
	v_div_scale_f32 v8, vcc, v6, v32, v6
	v_fma_f32 v10, -v7, v9, 1.0
	v_fmac_f32_e32 v9, v10, v9
	v_mul_f32_e32 v10, v8, v9
	v_fma_f32 v11, -v7, v10, v8
	v_fmac_f32_e32 v10, v11, v9
	v_fma_f32 v7, -v7, v10, v8
	v_div_fmas_f32 v7, v7, v9, v10
	v_div_fixup_f32 v6, v7, v32, v6
	global_store_dword v[0:1], v6, off offset:4
	flat_load_dword v6, v[2:3] offset:8
	s_waitcnt vmcnt(0) lgkmcnt(0)
	v_div_scale_f32 v7, s[6:7], v32, v32, v6
	v_rcp_f32_e32 v9, v7
	v_div_scale_f32 v8, vcc, v6, v32, v6
	v_fma_f32 v10, -v7, v9, 1.0
	v_fmac_f32_e32 v9, v10, v9
	v_mul_f32_e32 v10, v8, v9
	v_fma_f32 v11, -v7, v10, v8
	v_fmac_f32_e32 v10, v11, v9
	v_fma_f32 v7, -v7, v10, v8
	v_div_fmas_f32 v7, v7, v9, v10
	v_div_fixup_f32 v6, v7, v32, v6
	global_store_dword v[0:1], v6, off offset:8
	;; [unrolled: 14-line block ×7, first 2 shown]
	s_cbranch_scc1 .LBB17_100
.LBB17_101:
	s_and_b32 s0, s48, 7
	s_mov_b32 s1, 0
	s_cmp_eq_u64 s[0:1], 0
	s_cbranch_scc1 .LBB17_104
; %bb.102:
	s_mov_b64 s[4:5], s[0:1]
.LBB17_103:                             ; =>This Inner Loop Header: Depth=1
	s_lshl_b64 s[6:7], s[2:3], 2
	v_mov_b32_e32 v2, s7
	v_add_co_u32_e32 v0, vcc, s6, v14
	v_addc_co_u32_e32 v1, vcc, v15, v2, vcc
	flat_load_dword v3, v[0:1]
	v_add_co_u32_e32 v0, vcc, s6, v4
	v_addc_co_u32_e32 v1, vcc, v5, v2, vcc
	s_add_i32 s0, s2, 1
	s_add_u32 s4, s4, -1
	s_addc_u32 s5, s5, -1
	s_mov_b64 s[2:3], s[0:1]
	s_cmp_lg_u64 s[4:5], 0
	s_waitcnt vmcnt(0) lgkmcnt(0)
	v_div_scale_f32 v2, s[6:7], v32, v32, v3
	v_rcp_f32_e32 v6, v2
	v_div_scale_f32 v7, vcc, v3, v32, v3
	v_fma_f32 v8, -v2, v6, 1.0
	v_fmac_f32_e32 v6, v8, v6
	v_mul_f32_e32 v8, v7, v6
	v_fma_f32 v9, -v2, v8, v7
	v_fmac_f32_e32 v8, v9, v6
	v_fma_f32 v2, -v2, v8, v7
	v_div_fmas_f32 v2, v2, v6, v8
	v_div_fixup_f32 v2, v2, v32, v3
	global_store_dword v[0:1], v2, off
	s_cbranch_scc1 .LBB17_103
.LBB17_104:
	s_endpgm
	.section	.rodata,"a",@progbits
	.p2align	6, 0x0
	.amdhsa_kernel _Z21moe_fused_gate_kernelIDF16_Li12ELi96ELi8ELi1EEvPvS0_PfPilllldi
		.amdhsa_group_segment_fixed_size 0
		.amdhsa_private_segment_fixed_size 0
		.amdhsa_kernarg_size 76
		.amdhsa_user_sgpr_count 6
		.amdhsa_user_sgpr_private_segment_buffer 1
		.amdhsa_user_sgpr_dispatch_ptr 0
		.amdhsa_user_sgpr_queue_ptr 0
		.amdhsa_user_sgpr_kernarg_segment_ptr 1
		.amdhsa_user_sgpr_dispatch_id 0
		.amdhsa_user_sgpr_flat_scratch_init 0
		.amdhsa_user_sgpr_kernarg_preload_length 0
		.amdhsa_user_sgpr_kernarg_preload_offset 0
		.amdhsa_user_sgpr_private_segment_size 0
		.amdhsa_uses_dynamic_stack 0
		.amdhsa_system_sgpr_private_segment_wavefront_offset 0
		.amdhsa_system_sgpr_workgroup_id_x 1
		.amdhsa_system_sgpr_workgroup_id_y 0
		.amdhsa_system_sgpr_workgroup_id_z 0
		.amdhsa_system_sgpr_workgroup_info 0
		.amdhsa_system_vgpr_workitem_id 1
		.amdhsa_next_free_vgpr 49
		.amdhsa_next_free_sgpr 52
		.amdhsa_accum_offset 52
		.amdhsa_reserve_vcc 1
		.amdhsa_reserve_flat_scratch 0
		.amdhsa_float_round_mode_32 0
		.amdhsa_float_round_mode_16_64 0
		.amdhsa_float_denorm_mode_32 3
		.amdhsa_float_denorm_mode_16_64 3
		.amdhsa_dx10_clamp 1
		.amdhsa_ieee_mode 1
		.amdhsa_fp16_overflow 0
		.amdhsa_tg_split 0
		.amdhsa_exception_fp_ieee_invalid_op 0
		.amdhsa_exception_fp_denorm_src 0
		.amdhsa_exception_fp_ieee_div_zero 0
		.amdhsa_exception_fp_ieee_overflow 0
		.amdhsa_exception_fp_ieee_underflow 0
		.amdhsa_exception_fp_ieee_inexact 0
		.amdhsa_exception_int_div_zero 0
	.end_amdhsa_kernel
	.section	.text._Z21moe_fused_gate_kernelIDF16_Li12ELi96ELi8ELi1EEvPvS0_PfPilllldi,"axG",@progbits,_Z21moe_fused_gate_kernelIDF16_Li12ELi96ELi8ELi1EEvPvS0_PfPilllldi,comdat
.Lfunc_end17:
	.size	_Z21moe_fused_gate_kernelIDF16_Li12ELi96ELi8ELi1EEvPvS0_PfPilllldi, .Lfunc_end17-_Z21moe_fused_gate_kernelIDF16_Li12ELi96ELi8ELi1EEvPvS0_PfPilllldi
                                        ; -- End function
	.section	.AMDGPU.csdata,"",@progbits
; Kernel info:
; codeLenInByte = 6372
; NumSgprs: 56
; NumVgprs: 49
; NumAgprs: 0
; TotalNumVgprs: 49
; ScratchSize: 0
; MemoryBound: 0
; FloatMode: 240
; IeeeMode: 1
; LDSByteSize: 0 bytes/workgroup (compile time only)
; SGPRBlocks: 6
; VGPRBlocks: 6
; NumSGPRsForWavesPerEU: 56
; NumVGPRsForWavesPerEU: 49
; AccumOffset: 52
; Occupancy: 8
; WaveLimiterHint : 0
; COMPUTE_PGM_RSRC2:SCRATCH_EN: 0
; COMPUTE_PGM_RSRC2:USER_SGPR: 6
; COMPUTE_PGM_RSRC2:TRAP_HANDLER: 0
; COMPUTE_PGM_RSRC2:TGID_X_EN: 1
; COMPUTE_PGM_RSRC2:TGID_Y_EN: 0
; COMPUTE_PGM_RSRC2:TGID_Z_EN: 0
; COMPUTE_PGM_RSRC2:TIDIG_COMP_CNT: 1
; COMPUTE_PGM_RSRC3_GFX90A:ACCUM_OFFSET: 12
; COMPUTE_PGM_RSRC3_GFX90A:TG_SPLIT: 0
	.section	.text._Z21moe_fused_gate_kernelIfLi12ELi96ELi8ELi1EEvPvS0_PfPilllldi,"axG",@progbits,_Z21moe_fused_gate_kernelIfLi12ELi96ELi8ELi1EEvPvS0_PfPilllldi,comdat
	.protected	_Z21moe_fused_gate_kernelIfLi12ELi96ELi8ELi1EEvPvS0_PfPilllldi ; -- Begin function _Z21moe_fused_gate_kernelIfLi12ELi96ELi8ELi1EEvPvS0_PfPilllldi
	.globl	_Z21moe_fused_gate_kernelIfLi12ELi96ELi8ELi1EEvPvS0_PfPilllldi
	.p2align	8
	.type	_Z21moe_fused_gate_kernelIfLi12ELi96ELi8ELi1EEvPvS0_PfPilllldi,@function
_Z21moe_fused_gate_kernelIfLi12ELi96ELi8ELi1EEvPvS0_PfPilllldi: ; @_Z21moe_fused_gate_kernelIfLi12ELi96ELi8ELi1EEvPvS0_PfPilllldi
; %bb.0:
	s_load_dwordx16 s[36:51], s[4:5], 0x0
	v_and_b32_e32 v1, 0x3ff, v0
	v_bfe_u32 v0, v0, 10, 10
	v_add_u32_e32 v0, s6, v0
	v_lshrrev_b32_e32 v30, 3, v1
	v_mov_b32_e32 v28, 0
	v_lshl_add_u32 v24, v0, 3, v30
	v_mov_b32_e32 v25, v28
	s_waitcnt lgkmcnt(0)
	v_cmp_gt_i64_e32 vcc, s[44:45], v[24:25]
	s_and_saveexec_b64 s[0:1], vcc
	s_cbranch_execz .LBB18_104
; %bb.1:
	v_and_b32_e32 v26, 7, v1
	v_mov_b32_e32 v2, s36
	v_mov_b32_e32 v3, s37
	s_movk_i32 s0, 0x180
	v_mul_u32_u24_e32 v27, 12, v26
	v_mad_u64_u32 v[2:3], s[0:1], v24, s0, v[2:3]
	v_lshlrev_b32_e32 v29, 2, v27
	v_add_co_u32_e32 v32, vcc, v2, v29
	v_addc_co_u32_e32 v33, vcc, 0, v3, vcc
	global_load_dwordx4 v[12:15], v[32:33], off offset:32
	global_load_dwordx4 v[16:19], v[32:33], off offset:16
	global_load_dwordx4 v[20:23], v[32:33], off
	global_load_dwordx4 v[0:3], v29, s[38:39] offset:32
	global_load_dwordx4 v[4:7], v29, s[38:39] offset:16
	global_load_dwordx4 v[8:11], v29, s[38:39]
	s_waitcnt vmcnt(3)
	v_cmp_o_f32_e32 vcc, v20, v20
	s_and_saveexec_b64 s[0:1], vcc
	s_cbranch_execz .LBB18_3
; %bb.2:
	v_mul_f32_e32 v28, 0xbfb8aa3b, v20
	s_mov_b32 s2, 0xbfb8aa3b
	v_rndne_f32_e32 v29, v28
	v_sub_f32_e32 v31, v28, v29
	v_fma_f32 v28, v20, s2, -v28
	v_fmac_f32_e32 v28, 0xb2a5705f, v20
	v_add_f32_e32 v28, v31, v28
	v_exp_f32_e32 v28, v28
	v_cvt_i32_f32_e32 v29, v29
	s_mov_b32 s2, 0x42ce8ed0
	v_cmp_nlt_f32_e32 vcc, s2, v20
	s_mov_b32 s2, 0xc2b17218
	v_ldexp_f32 v28, v28, v29
	v_cndmask_b32_e32 v28, 0, v28, vcc
	v_mov_b32_e32 v29, 0x7f800000
	v_cmp_ngt_f32_e32 vcc, s2, v20
	v_cndmask_b32_e32 v20, v29, v28, vcc
	v_add_f32_e32 v20, 1.0, v20
	v_div_scale_f32 v28, s[2:3], v20, v20, 1.0
	v_rcp_f32_e32 v29, v28
	v_fma_f32 v31, -v28, v29, 1.0
	v_fmac_f32_e32 v29, v31, v29
	v_div_scale_f32 v31, vcc, 1.0, v20, 1.0
	v_mul_f32_e32 v32, v31, v29
	v_fma_f32 v33, -v28, v32, v31
	v_fmac_f32_e32 v32, v33, v29
	v_fma_f32 v28, -v28, v32, v31
	v_div_fmas_f32 v28, v28, v29, v32
	v_div_fixup_f32 v28, v28, v20, 1.0
.LBB18_3:
	s_or_b64 exec, exec, s[0:1]
	v_cmp_o_f32_e32 vcc, v21, v21
	v_mov_b32_e32 v20, 0
	v_mov_b32_e32 v29, 0
	s_and_saveexec_b64 s[0:1], vcc
	s_cbranch_execz .LBB18_5
; %bb.4:
	v_mul_f32_e32 v29, 0xbfb8aa3b, v21
	s_mov_b32 s2, 0xbfb8aa3b
	v_rndne_f32_e32 v31, v29
	v_sub_f32_e32 v32, v29, v31
	v_fma_f32 v29, v21, s2, -v29
	v_fmac_f32_e32 v29, 0xb2a5705f, v21
	v_add_f32_e32 v29, v32, v29
	v_exp_f32_e32 v29, v29
	v_cvt_i32_f32_e32 v31, v31
	s_mov_b32 s2, 0x42ce8ed0
	v_cmp_nlt_f32_e32 vcc, s2, v21
	s_mov_b32 s2, 0xc2b17218
	v_ldexp_f32 v29, v29, v31
	v_cndmask_b32_e32 v29, 0, v29, vcc
	v_mov_b32_e32 v31, 0x7f800000
	v_cmp_ngt_f32_e32 vcc, s2, v21
	v_cndmask_b32_e32 v21, v31, v29, vcc
	v_add_f32_e32 v21, 1.0, v21
	v_div_scale_f32 v29, s[2:3], v21, v21, 1.0
	v_rcp_f32_e32 v31, v29
	v_fma_f32 v32, -v29, v31, 1.0
	v_fmac_f32_e32 v31, v32, v31
	v_div_scale_f32 v32, vcc, 1.0, v21, 1.0
	v_mul_f32_e32 v33, v32, v31
	v_fma_f32 v34, -v29, v33, v32
	v_fmac_f32_e32 v33, v34, v31
	v_fma_f32 v29, -v29, v33, v32
	v_div_fmas_f32 v29, v29, v31, v33
	v_div_fixup_f32 v29, v29, v21, 1.0
.LBB18_5:
	s_or_b64 exec, exec, s[0:1]
	v_cmp_o_f32_e32 vcc, v22, v22
	s_and_saveexec_b64 s[0:1], vcc
	s_cbranch_execz .LBB18_7
; %bb.6:
	v_mul_f32_e32 v20, 0xbfb8aa3b, v22
	s_mov_b32 s2, 0xbfb8aa3b
	v_rndne_f32_e32 v21, v20
	v_sub_f32_e32 v31, v20, v21
	v_fma_f32 v20, v22, s2, -v20
	v_fmac_f32_e32 v20, 0xb2a5705f, v22
	v_add_f32_e32 v20, v31, v20
	v_exp_f32_e32 v20, v20
	v_cvt_i32_f32_e32 v21, v21
	s_mov_b32 s2, 0x42ce8ed0
	v_cmp_nlt_f32_e32 vcc, s2, v22
	s_mov_b32 s2, 0xc2b17218
	v_ldexp_f32 v20, v20, v21
	v_cndmask_b32_e32 v20, 0, v20, vcc
	v_mov_b32_e32 v21, 0x7f800000
	v_cmp_ngt_f32_e32 vcc, s2, v22
	v_cndmask_b32_e32 v20, v21, v20, vcc
	v_add_f32_e32 v20, 1.0, v20
	v_div_scale_f32 v21, s[2:3], v20, v20, 1.0
	v_rcp_f32_e32 v22, v21
	v_fma_f32 v31, -v21, v22, 1.0
	v_fmac_f32_e32 v22, v31, v22
	v_div_scale_f32 v31, vcc, 1.0, v20, 1.0
	v_mul_f32_e32 v32, v31, v22
	v_fma_f32 v33, -v21, v32, v31
	v_fmac_f32_e32 v32, v33, v22
	v_fma_f32 v21, -v21, v32, v31
	v_div_fmas_f32 v21, v21, v22, v32
	v_div_fixup_f32 v20, v21, v20, 1.0
.LBB18_7:
	s_or_b64 exec, exec, s[0:1]
	v_cmp_o_f32_e32 vcc, v23, v23
	v_mov_b32_e32 v21, 0
	v_mov_b32_e32 v22, 0
	s_and_saveexec_b64 s[0:1], vcc
	s_cbranch_execz .LBB18_9
; %bb.8:
	v_mul_f32_e32 v22, 0xbfb8aa3b, v23
	s_mov_b32 s2, 0xbfb8aa3b
	v_rndne_f32_e32 v31, v22
	v_sub_f32_e32 v32, v22, v31
	v_fma_f32 v22, v23, s2, -v22
	v_fmac_f32_e32 v22, 0xb2a5705f, v23
	v_add_f32_e32 v22, v32, v22
	v_exp_f32_e32 v22, v22
	v_cvt_i32_f32_e32 v31, v31
	s_mov_b32 s2, 0x42ce8ed0
	v_cmp_nlt_f32_e32 vcc, s2, v23
	s_mov_b32 s2, 0xc2b17218
	v_ldexp_f32 v22, v22, v31
	v_cndmask_b32_e32 v22, 0, v22, vcc
	v_mov_b32_e32 v31, 0x7f800000
	v_cmp_ngt_f32_e32 vcc, s2, v23
	v_cndmask_b32_e32 v22, v31, v22, vcc
	v_add_f32_e32 v22, 1.0, v22
	v_div_scale_f32 v23, s[2:3], v22, v22, 1.0
	v_rcp_f32_e32 v31, v23
	v_fma_f32 v32, -v23, v31, 1.0
	v_fmac_f32_e32 v31, v32, v31
	v_div_scale_f32 v32, vcc, 1.0, v22, 1.0
	v_mul_f32_e32 v33, v32, v31
	v_fma_f32 v34, -v23, v33, v32
	v_fmac_f32_e32 v33, v34, v31
	v_fma_f32 v23, -v23, v33, v32
	v_div_fmas_f32 v23, v23, v31, v33
	v_div_fixup_f32 v22, v23, v22, 1.0
.LBB18_9:
	s_or_b64 exec, exec, s[0:1]
	v_cmp_o_f32_e32 vcc, v16, v16
	s_and_saveexec_b64 s[0:1], vcc
	s_cbranch_execz .LBB18_11
; %bb.10:
	v_mul_f32_e32 v21, 0xbfb8aa3b, v16
	s_mov_b32 s2, 0xbfb8aa3b
	v_rndne_f32_e32 v23, v21
	v_sub_f32_e32 v31, v21, v23
	v_fma_f32 v21, v16, s2, -v21
	v_fmac_f32_e32 v21, 0xb2a5705f, v16
	v_add_f32_e32 v21, v31, v21
	v_exp_f32_e32 v21, v21
	v_cvt_i32_f32_e32 v23, v23
	s_mov_b32 s2, 0x42ce8ed0
	v_cmp_nlt_f32_e32 vcc, s2, v16
	s_mov_b32 s2, 0xc2b17218
	v_ldexp_f32 v21, v21, v23
	v_cndmask_b32_e32 v21, 0, v21, vcc
	v_mov_b32_e32 v23, 0x7f800000
	v_cmp_ngt_f32_e32 vcc, s2, v16
	v_cndmask_b32_e32 v16, v23, v21, vcc
	v_add_f32_e32 v16, 1.0, v16
	v_div_scale_f32 v21, s[2:3], v16, v16, 1.0
	v_rcp_f32_e32 v23, v21
	v_fma_f32 v31, -v21, v23, 1.0
	v_fmac_f32_e32 v23, v31, v23
	v_div_scale_f32 v31, vcc, 1.0, v16, 1.0
	v_mul_f32_e32 v32, v31, v23
	v_fma_f32 v33, -v21, v32, v31
	v_fmac_f32_e32 v32, v33, v23
	v_fma_f32 v21, -v21, v32, v31
	v_div_fmas_f32 v21, v21, v23, v32
	v_div_fixup_f32 v21, v21, v16, 1.0
.LBB18_11:
	s_or_b64 exec, exec, s[0:1]
	v_cmp_o_f32_e32 vcc, v17, v17
	v_mov_b32_e32 v16, 0
	v_mov_b32_e32 v23, 0
	s_and_saveexec_b64 s[0:1], vcc
	s_cbranch_execz .LBB18_13
; %bb.12:
	v_mul_f32_e32 v23, 0xbfb8aa3b, v17
	s_mov_b32 s2, 0xbfb8aa3b
	v_rndne_f32_e32 v31, v23
	v_sub_f32_e32 v32, v23, v31
	v_fma_f32 v23, v17, s2, -v23
	v_fmac_f32_e32 v23, 0xb2a5705f, v17
	v_add_f32_e32 v23, v32, v23
	v_exp_f32_e32 v23, v23
	v_cvt_i32_f32_e32 v31, v31
	s_mov_b32 s2, 0x42ce8ed0
	v_cmp_nlt_f32_e32 vcc, s2, v17
	s_mov_b32 s2, 0xc2b17218
	v_ldexp_f32 v23, v23, v31
	v_cndmask_b32_e32 v23, 0, v23, vcc
	v_mov_b32_e32 v31, 0x7f800000
	v_cmp_ngt_f32_e32 vcc, s2, v17
	v_cndmask_b32_e32 v17, v31, v23, vcc
	v_add_f32_e32 v17, 1.0, v17
	v_div_scale_f32 v23, s[2:3], v17, v17, 1.0
	v_rcp_f32_e32 v31, v23
	v_fma_f32 v32, -v23, v31, 1.0
	v_fmac_f32_e32 v31, v32, v31
	v_div_scale_f32 v32, vcc, 1.0, v17, 1.0
	v_mul_f32_e32 v33, v32, v31
	v_fma_f32 v34, -v23, v33, v32
	v_fmac_f32_e32 v33, v34, v31
	v_fma_f32 v23, -v23, v33, v32
	v_div_fmas_f32 v23, v23, v31, v33
	v_div_fixup_f32 v23, v23, v17, 1.0
.LBB18_13:
	s_or_b64 exec, exec, s[0:1]
	v_cmp_o_f32_e32 vcc, v18, v18
	s_and_saveexec_b64 s[0:1], vcc
	s_cbranch_execz .LBB18_15
; %bb.14:
	v_mul_f32_e32 v16, 0xbfb8aa3b, v18
	s_mov_b32 s2, 0xbfb8aa3b
	v_rndne_f32_e32 v17, v16
	v_sub_f32_e32 v31, v16, v17
	v_fma_f32 v16, v18, s2, -v16
	v_fmac_f32_e32 v16, 0xb2a5705f, v18
	v_add_f32_e32 v16, v31, v16
	v_exp_f32_e32 v16, v16
	v_cvt_i32_f32_e32 v17, v17
	s_mov_b32 s2, 0x42ce8ed0
	v_cmp_nlt_f32_e32 vcc, s2, v18
	s_mov_b32 s2, 0xc2b17218
	v_ldexp_f32 v16, v16, v17
	v_cndmask_b32_e32 v16, 0, v16, vcc
	v_mov_b32_e32 v17, 0x7f800000
	v_cmp_ngt_f32_e32 vcc, s2, v18
	v_cndmask_b32_e32 v16, v17, v16, vcc
	v_add_f32_e32 v16, 1.0, v16
	v_div_scale_f32 v17, s[2:3], v16, v16, 1.0
	v_rcp_f32_e32 v18, v17
	v_fma_f32 v31, -v17, v18, 1.0
	v_fmac_f32_e32 v18, v31, v18
	v_div_scale_f32 v31, vcc, 1.0, v16, 1.0
	v_mul_f32_e32 v32, v31, v18
	v_fma_f32 v33, -v17, v32, v31
	v_fmac_f32_e32 v32, v33, v18
	v_fma_f32 v17, -v17, v32, v31
	v_div_fmas_f32 v17, v17, v18, v32
	v_div_fixup_f32 v16, v17, v16, 1.0
.LBB18_15:
	s_or_b64 exec, exec, s[0:1]
	v_cmp_o_f32_e32 vcc, v19, v19
	v_mov_b32_e32 v17, 0
	v_mov_b32_e32 v18, 0
	s_and_saveexec_b64 s[0:1], vcc
	s_cbranch_execz .LBB18_17
; %bb.16:
	v_mul_f32_e32 v18, 0xbfb8aa3b, v19
	s_mov_b32 s2, 0xbfb8aa3b
	v_rndne_f32_e32 v31, v18
	v_sub_f32_e32 v32, v18, v31
	v_fma_f32 v18, v19, s2, -v18
	v_fmac_f32_e32 v18, 0xb2a5705f, v19
	v_add_f32_e32 v18, v32, v18
	v_exp_f32_e32 v18, v18
	v_cvt_i32_f32_e32 v31, v31
	s_mov_b32 s2, 0x42ce8ed0
	v_cmp_nlt_f32_e32 vcc, s2, v19
	s_mov_b32 s2, 0xc2b17218
	v_ldexp_f32 v18, v18, v31
	v_cndmask_b32_e32 v18, 0, v18, vcc
	v_mov_b32_e32 v31, 0x7f800000
	v_cmp_ngt_f32_e32 vcc, s2, v19
	v_cndmask_b32_e32 v18, v31, v18, vcc
	v_add_f32_e32 v18, 1.0, v18
	v_div_scale_f32 v19, s[2:3], v18, v18, 1.0
	v_rcp_f32_e32 v31, v19
	v_fma_f32 v32, -v19, v31, 1.0
	v_fmac_f32_e32 v31, v32, v31
	v_div_scale_f32 v32, vcc, 1.0, v18, 1.0
	v_mul_f32_e32 v33, v32, v31
	v_fma_f32 v34, -v19, v33, v32
	v_fmac_f32_e32 v33, v34, v31
	v_fma_f32 v19, -v19, v33, v32
	v_div_fmas_f32 v19, v19, v31, v33
	v_div_fixup_f32 v18, v19, v18, 1.0
.LBB18_17:
	s_or_b64 exec, exec, s[0:1]
	v_cmp_o_f32_e32 vcc, v12, v12
	s_and_saveexec_b64 s[0:1], vcc
	s_cbranch_execz .LBB18_19
; %bb.18:
	v_mul_f32_e32 v17, 0xbfb8aa3b, v12
	s_mov_b32 s2, 0xbfb8aa3b
	v_rndne_f32_e32 v19, v17
	v_sub_f32_e32 v31, v17, v19
	v_fma_f32 v17, v12, s2, -v17
	v_fmac_f32_e32 v17, 0xb2a5705f, v12
	v_add_f32_e32 v17, v31, v17
	v_exp_f32_e32 v17, v17
	v_cvt_i32_f32_e32 v19, v19
	s_mov_b32 s2, 0x42ce8ed0
	v_cmp_nlt_f32_e32 vcc, s2, v12
	s_mov_b32 s2, 0xc2b17218
	v_ldexp_f32 v17, v17, v19
	v_cndmask_b32_e32 v17, 0, v17, vcc
	v_mov_b32_e32 v19, 0x7f800000
	v_cmp_ngt_f32_e32 vcc, s2, v12
	v_cndmask_b32_e32 v12, v19, v17, vcc
	v_add_f32_e32 v12, 1.0, v12
	v_div_scale_f32 v17, s[2:3], v12, v12, 1.0
	v_rcp_f32_e32 v19, v17
	v_fma_f32 v31, -v17, v19, 1.0
	v_fmac_f32_e32 v19, v31, v19
	v_div_scale_f32 v31, vcc, 1.0, v12, 1.0
	v_mul_f32_e32 v32, v31, v19
	v_fma_f32 v33, -v17, v32, v31
	v_fmac_f32_e32 v32, v33, v19
	v_fma_f32 v17, -v17, v32, v31
	v_div_fmas_f32 v17, v17, v19, v32
	v_div_fixup_f32 v17, v17, v12, 1.0
.LBB18_19:
	s_or_b64 exec, exec, s[0:1]
	v_cmp_o_f32_e32 vcc, v13, v13
	v_mov_b32_e32 v12, 0
	v_mov_b32_e32 v31, 0
	s_and_saveexec_b64 s[0:1], vcc
	s_cbranch_execz .LBB18_21
; %bb.20:
	v_mul_f32_e32 v19, 0xbfb8aa3b, v13
	s_mov_b32 s2, 0xbfb8aa3b
	v_rndne_f32_e32 v31, v19
	v_sub_f32_e32 v32, v19, v31
	v_fma_f32 v19, v13, s2, -v19
	v_fmac_f32_e32 v19, 0xb2a5705f, v13
	v_add_f32_e32 v19, v32, v19
	v_exp_f32_e32 v19, v19
	v_cvt_i32_f32_e32 v31, v31
	s_mov_b32 s2, 0x42ce8ed0
	v_cmp_nlt_f32_e32 vcc, s2, v13
	s_mov_b32 s2, 0xc2b17218
	v_ldexp_f32 v19, v19, v31
	v_cndmask_b32_e32 v19, 0, v19, vcc
	v_mov_b32_e32 v31, 0x7f800000
	v_cmp_ngt_f32_e32 vcc, s2, v13
	v_cndmask_b32_e32 v13, v31, v19, vcc
	v_add_f32_e32 v13, 1.0, v13
	v_div_scale_f32 v19, s[2:3], v13, v13, 1.0
	v_rcp_f32_e32 v31, v19
	v_fma_f32 v32, -v19, v31, 1.0
	v_fmac_f32_e32 v31, v32, v31
	v_div_scale_f32 v32, vcc, 1.0, v13, 1.0
	v_mul_f32_e32 v33, v32, v31
	v_fma_f32 v34, -v19, v33, v32
	v_fmac_f32_e32 v33, v34, v31
	v_fma_f32 v19, -v19, v33, v32
	v_div_fmas_f32 v19, v19, v31, v33
	v_div_fixup_f32 v31, v19, v13, 1.0
.LBB18_21:
	s_or_b64 exec, exec, s[0:1]
	v_cmp_o_f32_e32 vcc, v14, v14
	s_and_saveexec_b64 s[0:1], vcc
	s_cbranch_execz .LBB18_23
; %bb.22:
	v_mul_f32_e32 v12, 0xbfb8aa3b, v14
	s_mov_b32 s2, 0xbfb8aa3b
	v_rndne_f32_e32 v13, v12
	v_sub_f32_e32 v19, v12, v13
	v_fma_f32 v12, v14, s2, -v12
	v_fmac_f32_e32 v12, 0xb2a5705f, v14
	v_add_f32_e32 v12, v19, v12
	v_exp_f32_e32 v12, v12
	v_cvt_i32_f32_e32 v13, v13
	s_mov_b32 s2, 0x42ce8ed0
	v_cmp_nlt_f32_e32 vcc, s2, v14
	s_mov_b32 s2, 0xc2b17218
	v_ldexp_f32 v12, v12, v13
	v_cndmask_b32_e32 v12, 0, v12, vcc
	v_mov_b32_e32 v13, 0x7f800000
	v_cmp_ngt_f32_e32 vcc, s2, v14
	v_cndmask_b32_e32 v12, v13, v12, vcc
	v_add_f32_e32 v12, 1.0, v12
	v_div_scale_f32 v13, s[2:3], v12, v12, 1.0
	v_rcp_f32_e32 v14, v13
	v_fma_f32 v19, -v13, v14, 1.0
	v_fmac_f32_e32 v14, v19, v14
	v_div_scale_f32 v19, vcc, 1.0, v12, 1.0
	v_mul_f32_e32 v32, v19, v14
	v_fma_f32 v33, -v13, v32, v19
	v_fmac_f32_e32 v32, v33, v14
	v_fma_f32 v13, -v13, v32, v19
	v_div_fmas_f32 v13, v13, v14, v32
	v_div_fixup_f32 v12, v13, v12, 1.0
.LBB18_23:
	s_or_b64 exec, exec, s[0:1]
	v_cmp_o_f32_e32 vcc, v15, v15
	v_mov_b32_e32 v13, 0
	s_and_saveexec_b64 s[0:1], vcc
	s_cbranch_execz .LBB18_25
; %bb.24:
	v_mul_f32_e32 v13, 0xbfb8aa3b, v15
	s_mov_b32 s2, 0xbfb8aa3b
	v_rndne_f32_e32 v14, v13
	v_sub_f32_e32 v19, v13, v14
	v_fma_f32 v13, v15, s2, -v13
	v_fmac_f32_e32 v13, 0xb2a5705f, v15
	v_add_f32_e32 v13, v19, v13
	v_exp_f32_e32 v13, v13
	v_cvt_i32_f32_e32 v14, v14
	s_mov_b32 s2, 0x42ce8ed0
	v_cmp_nlt_f32_e32 vcc, s2, v15
	s_mov_b32 s2, 0xc2b17218
	v_ldexp_f32 v13, v13, v14
	v_cndmask_b32_e32 v13, 0, v13, vcc
	v_mov_b32_e32 v14, 0x7f800000
	v_cmp_ngt_f32_e32 vcc, s2, v15
	v_cndmask_b32_e32 v13, v14, v13, vcc
	v_add_f32_e32 v13, 1.0, v13
	v_div_scale_f32 v14, s[2:3], v13, v13, 1.0
	v_rcp_f32_e32 v15, v14
	v_fma_f32 v19, -v14, v15, 1.0
	v_fmac_f32_e32 v15, v19, v15
	v_div_scale_f32 v19, vcc, 1.0, v13, 1.0
	v_mul_f32_e32 v32, v19, v15
	v_fma_f32 v33, -v14, v32, v19
	v_fmac_f32_e32 v32, v33, v15
	v_fma_f32 v14, -v14, v32, v19
	v_div_fmas_f32 v14, v14, v15, v32
	v_div_fixup_f32 v13, v14, v13, 1.0
.LBB18_25:
	s_or_b64 exec, exec, s[0:1]
	s_waitcnt vmcnt(0)
	v_add_f32_e32 v8, v8, v28
	v_add_f32_e32 v9, v9, v29
	v_max_f32_e32 v19, 0xff7fffff, v8
	s_mov_b32 s2, 0xff7fffff
	v_cmp_ngt_f32_e32 vcc, v9, v19
	v_mov_b32_e32 v14, v19
	v_mov_b32_e32 v15, v9
	s_and_saveexec_b64 s[0:1], vcc
	s_cbranch_execz .LBB18_29
; %bb.26:
	v_cmp_lt_f32_e32 vcc, s2, v9
	v_mov_b32_e32 v14, 0xff7fffff
	s_and_saveexec_b64 s[2:3], vcc
; %bb.27:
	v_mov_b32_e32 v14, v9
; %bb.28:
	s_or_b64 exec, exec, s[2:3]
	v_mov_b32_e32 v15, v19
.LBB18_29:
	s_or_b64 exec, exec, s[0:1]
	v_add_f32_e32 v10, v10, v20
	v_cmp_ngt_f32_e32 vcc, v10, v15
	v_mov_b32_e32 v32, v15
	v_mov_b32_e32 v19, v10
	s_and_saveexec_b64 s[0:1], vcc
	s_cbranch_execz .LBB18_33
; %bb.30:
	v_cmp_gt_f32_e32 vcc, v10, v14
	s_and_saveexec_b64 s[2:3], vcc
; %bb.31:
	v_mov_b32_e32 v14, v10
; %bb.32:
	s_or_b64 exec, exec, s[2:3]
	v_mov_b32_e32 v32, v14
	v_mov_b32_e32 v19, v15
.LBB18_33:
	s_or_b64 exec, exec, s[0:1]
	v_add_f32_e32 v11, v11, v22
	v_cmp_ngt_f32_e32 vcc, v11, v19
	v_mov_b32_e32 v33, v19
	v_mov_b32_e32 v14, v11
	s_and_saveexec_b64 s[0:1], vcc
	s_cbranch_execz .LBB18_37
; %bb.34:
	v_cmp_gt_f32_e32 vcc, v11, v32
	s_and_saveexec_b64 s[2:3], vcc
; %bb.35:
	v_mov_b32_e32 v32, v11
; %bb.36:
	s_or_b64 exec, exec, s[2:3]
	v_mov_b32_e32 v33, v32
	v_mov_b32_e32 v14, v19
.LBB18_37:
	;; [unrolled: 17-line block ×10, first 2 shown]
	s_or_b64 exec, exec, s[0:1]
	v_cmp_lt_i64_e64 s[0:1], s[46:47], 8
	s_and_b64 vcc, exec, s[0:1]
	s_cbranch_vccz .LBB18_72
; %bb.70:
	s_sub_u32 s6, 8, s46
	s_subb_u32 s7, 0, s47
	v_add_f32_e32 v0, v1, v3
	s_mov_b64 s[8:9], 0
	s_mov_b32 s10, 0x2aaaaaab
	v_mov_b32_e32 v1, 0x7f7fffff
.LBB18_71:                              ; =>This Inner Loop Header: Depth=1
	v_mov_b32_dpp v2, v27 quad_perm:[1,0,3,2] row_mask:0xf bank_mask:0xf
	v_mov_b32_dpp v3, v0 quad_perm:[1,0,3,2] row_mask:0xf bank_mask:0xf
	v_cmp_eq_f32_e64 s[0:1], v0, v3
	v_cmp_lt_i32_e64 s[2:3], v27, v2
	v_cmp_lt_f32_e32 vcc, v0, v3
	s_and_b64 s[0:1], s[2:3], s[0:1]
	s_or_b64 vcc, vcc, s[0:1]
	v_cndmask_b32_e32 v3, v3, v0, vcc
	v_cndmask_b32_e32 v2, v2, v27, vcc
	s_nop 0
	v_mov_b32_dpp v7, v3 quad_perm:[2,3,0,1] row_mask:0xf bank_mask:0xf
	v_mov_b32_dpp v6, v2 quad_perm:[2,3,0,1] row_mask:0xf bank_mask:0xf
	v_cmp_eq_f32_e32 vcc, v3, v7
	v_cmp_lt_i32_e64 s[0:1], v2, v6
	s_and_b64 vcc, vcc, s[0:1]
	v_cmp_lt_f32_e64 s[0:1], v3, v7
	v_cndmask_b32_e32 v19, v7, v3, vcc
	s_or_b64 vcc, s[0:1], vcc
	v_cndmask_b32_e64 v3, v19, v3, s[0:1]
	v_cndmask_b32_e32 v2, v6, v2, vcc
	s_add_u32 s8, s8, 1
	v_mov_b32_dpp v7, v3 row_half_mirror row_mask:0xf bank_mask:0xf
	v_mov_b32_dpp v6, v2 row_half_mirror row_mask:0xf bank_mask:0xf
	v_min_i32_e32 v19, v2, v6
	v_cmp_eq_f32_e32 vcc, v3, v7
	v_cndmask_b32_e32 v6, v6, v19, vcc
	v_cmp_lt_f32_e32 vcc, v3, v7
	v_cndmask_b32_e32 v2, v6, v2, vcc
	v_mul_hi_i32 v2, v2, s10
	v_lshrrev_b32_e32 v3, 31, v2
	v_ashrrev_i32_e32 v2, 1, v2
	v_add_u32_e32 v2, v2, v3
	s_addc_u32 s9, s9, 0
	v_cmp_eq_u32_e32 vcc, v26, v2
	v_pk_mov_b32 v[2:3], s[8:9], s[8:9] op_sel:[0,1]
	v_cndmask_b32_e32 v8, v8, v1, vcc
	v_cndmask_b32_e32 v0, v0, v1, vcc
	v_cmp_le_i64_e32 vcc, s[6:7], v[2:3]
	s_cbranch_vccz .LBB18_71
.LBB18_72:
	s_sub_u32 s26, s48, s50
	s_subb_u32 s27, s49, s51
	s_mov_b64 s[0:1], src_shared_base
	s_cmp_lg_u32 0, -1
	s_cselect_b32 s0, s1, 0
	s_cselect_b32 s1, 0, 0
	s_add_u32 s1, s1, 0xff
	s_addc_u32 s0, s0, 0
	s_and_b32 s1, s1, 0xffffff00
	v_mov_b32_e32 v0, s1
	v_mov_b32_e32 v1, s0
	v_lshlrev_b32_e32 v2, 2, v30
	v_mad_u64_u32 v[6:7], s[0:1], v2, s48, v[0:1]
	s_load_dword s33, s[4:5], 0x48
	v_mov_b32_e32 v0, v7
	v_mad_u64_u32 v[0:1], s[0:1], v2, s49, v[0:1]
	v_cmp_lt_i64_e64 s[0:1], s[26:27], 1
	v_mov_b32_e32 v7, v0
	s_and_b64 vcc, exec, s[0:1]
	v_cmp_eq_u32_e64 s[0:1], 0, v26
	s_cbranch_vccnz .LBB18_83
; %bb.73:
	s_waitcnt lgkmcnt(0)
	v_mad_u64_u32 v[0:1], s[2:3], s33, v24, 0
	s_ashr_i32 s6, s33, 31
	v_mov_b32_e32 v2, v1
	v_mad_u64_u32 v[2:3], s[2:3], s6, v24, v[2:3]
	v_mov_b32_e32 v1, v2
	v_lshlrev_b64 v[0:1], 2, v[0:1]
	v_mov_b32_e32 v2, s43
	v_add_co_u32_e32 v0, vcc, s42, v0
	v_addc_co_u32_e32 v1, vcc, v2, v1, vcc
	v_add_u32_e32 v30, 4, v27
	v_add_u32_e32 v36, 5, v27
	;; [unrolled: 1-line block ×8, first 2 shown]
	s_mov_b64 s[28:29], 0
	v_mov_b32_e32 v19, 0
	s_mov_b32 s36, 0x7f7fffff
	s_mov_b32 s37, 0x2aaaaaab
	v_mov_b32_e32 v43, 0xff7fffff
	v_pk_mov_b32 v[2:3], v[6:7], v[6:7] op_sel:[0,1]
	s_branch .LBB18_75
.LBB18_74:                              ;   in Loop: Header=BB18_75 Depth=1
	s_or_b64 exec, exec, s[2:3]
	v_add_co_u32_e32 v0, vcc, 4, v0
	s_add_u32 s28, s28, 1
	v_addc_co_u32_e32 v1, vcc, 0, v1, vcc
	s_addc_u32 s29, s29, 0
	v_add_co_u32_e32 v2, vcc, 4, v2
	v_addc_co_u32_e32 v3, vcc, 0, v3, vcc
	v_pk_mov_b32 v[44:45], s[28:29], s[28:29] op_sel:[0,1]
	v_cmp_le_i64_e32 vcc, s[26:27], v[44:45]
	s_cbranch_vccnz .LBB18_84
.LBB18_75:                              ; =>This Inner Loop Header: Depth=1
	v_cmp_neq_f32_e32 vcc, s36, v8
	v_mov_b32_e32 v44, 0xff7fffff
	v_mov_b32_e32 v45, v27
	s_and_saveexec_b64 s[2:3], vcc
	s_cbranch_execz .LBB18_77
; %bb.76:                               ;   in Loop: Header=BB18_75 Depth=1
	v_cmp_gt_f32_e32 vcc, v9, v8
	v_cndmask_b32_e32 v44, v8, v9, vcc
	v_cndmask_b32_e64 v45, 0, 1, vcc
	v_cmp_gt_f32_e32 vcc, v10, v44
	v_cndmask_b32_e32 v44, v44, v10, vcc
	v_cndmask_b32_e64 v45, v45, 2, vcc
	;; [unrolled: 3-line block ×3, first 2 shown]
	v_cmp_gt_f32_e32 vcc, v4, v44
	v_or_b32_e32 v45, v45, v27
	v_cndmask_b32_e32 v44, v44, v4, vcc
	v_cndmask_b32_e32 v45, v45, v30, vcc
	v_cmp_gt_f32_e32 vcc, v5, v44
	v_cndmask_b32_e32 v44, v44, v5, vcc
	v_cndmask_b32_e32 v45, v45, v36, vcc
	v_cmp_gt_f32_e32 vcc, v14, v44
	;; [unrolled: 3-line block ×7, first 2 shown]
	v_cndmask_b32_e32 v44, v44, v35, vcc
	v_cndmask_b32_e32 v45, v45, v42, vcc
.LBB18_77:                              ;   in Loop: Header=BB18_75 Depth=1
	s_or_b64 exec, exec, s[2:3]
	s_nop 0
	v_mov_b32_dpp v46, v45 quad_perm:[1,0,3,2] row_mask:0xf bank_mask:0xf
	v_mov_b32_dpp v47, v44 quad_perm:[1,0,3,2] row_mask:0xf bank_mask:0xf
	v_cmp_eq_f32_e64 s[2:3], v44, v47
	v_cmp_lt_i32_e64 s[6:7], v45, v46
	v_cmp_gt_f32_e32 vcc, v44, v47
	s_and_b64 s[2:3], s[2:3], s[6:7]
	s_or_b64 vcc, vcc, s[2:3]
	v_cndmask_b32_e32 v44, v47, v44, vcc
	v_cndmask_b32_e32 v45, v46, v45, vcc
	s_nop 0
	v_mov_b32_dpp v47, v44 quad_perm:[2,3,0,1] row_mask:0xf bank_mask:0xf
	v_mov_b32_dpp v46, v45 quad_perm:[2,3,0,1] row_mask:0xf bank_mask:0xf
	v_cmp_eq_f32_e32 vcc, v44, v47
	v_cmp_lt_i32_e64 s[2:3], v45, v46
	s_and_b64 vcc, vcc, s[2:3]
	v_cmp_gt_f32_e64 s[2:3], v44, v47
	v_cndmask_b32_e32 v48, v47, v44, vcc
	s_or_b64 vcc, s[2:3], vcc
	v_cndmask_b32_e64 v44, v48, v44, s[2:3]
	v_cndmask_b32_e32 v45, v46, v45, vcc
	s_nop 0
	v_mov_b32_dpp v47, v44 row_half_mirror row_mask:0xf bank_mask:0xf
	v_mov_b32_dpp v46, v45 row_half_mirror row_mask:0xf bank_mask:0xf
	v_min_i32_e32 v48, v45, v46
	v_cmp_eq_f32_e32 vcc, v44, v47
	v_cndmask_b32_e32 v46, v46, v48, vcc
	v_cmp_gt_f32_e32 vcc, v44, v47
	v_cndmask_b32_e32 v44, v46, v45, vcc
	v_mul_hi_i32 v45, v44, s37
	v_lshrrev_b32_e32 v46, 31, v45
	v_ashrrev_i32_e32 v45, 1, v45
	v_add_u32_e32 v45, v45, v46
	v_cmp_eq_u32_e32 vcc, v26, v45
	s_and_saveexec_b64 s[30:31], vcc
	s_cbranch_execz .LBB18_81
; %bb.78:                               ;   in Loop: Header=BB18_75 Depth=1
	v_sub_u32_e32 v45, v44, v27
	v_cmp_eq_u32_e32 vcc, 1, v45
	v_cmp_eq_u32_e64 s[2:3], 2, v45
	v_cmp_eq_u32_e64 s[6:7], 3, v45
	;; [unrolled: 1-line block ×10, first 2 shown]
	v_cmp_gt_u32_e64 s[24:25], 12, v45
	s_and_saveexec_b64 s[34:35], s[24:25]
	s_cbranch_execz .LBB18_80
; %bb.79:                               ;   in Loop: Header=BB18_75 Depth=1
	v_cndmask_b32_e32 v46, v28, v29, vcc
	v_cndmask_b32_e64 v46, v46, v20, s[2:3]
	v_cndmask_b32_e64 v46, v46, v22, s[6:7]
	;; [unrolled: 1-line block ×10, first 2 shown]
	flat_store_dword v[2:3], v46
.LBB18_80:                              ;   in Loop: Header=BB18_75 Depth=1
	s_or_b64 exec, exec, s[34:35]
	v_cmp_ne_u32_e64 s[24:25], 0, v45
	v_cndmask_b32_e64 v8, v43, v8, s[24:25]
	v_cndmask_b32_e32 v9, v9, v43, vcc
	v_cndmask_b32_e64 v10, v10, v43, s[2:3]
	v_cndmask_b32_e64 v11, v11, v43, s[6:7]
	;; [unrolled: 1-line block ×10, first 2 shown]
	global_store_dword v[0:1], v44, off
.LBB18_81:                              ;   in Loop: Header=BB18_75 Depth=1
	s_or_b64 exec, exec, s[30:31]
	s_waitcnt lgkmcnt(0)
	s_barrier
	s_and_saveexec_b64 s[2:3], s[0:1]
	s_cbranch_execz .LBB18_74
; %bb.82:                               ;   in Loop: Header=BB18_75 Depth=1
	flat_load_dword v44, v[2:3]
	s_waitcnt vmcnt(0) lgkmcnt(0)
	v_add_f32_e32 v19, v19, v44
	s_branch .LBB18_74
.LBB18_83:
	v_mov_b32_e32 v19, 0
.LBB18_84:
	v_cmp_eq_u32_e64 s[0:1], 0, v26
	v_cmp_gt_i64_e64 s[2:3], s[50:51], 0
	s_and_b64 s[6:7], s[0:1], s[2:3]
	s_and_saveexec_b64 s[2:3], s[6:7]
	s_cbranch_execz .LBB18_97
; %bb.85:
	v_cmp_le_u64_e32 vcc, s[50:51], v[24:25]
	v_pk_mov_b32 v[0:1], v[24:25], v[24:25] op_sel:[0,1]
	s_and_saveexec_b64 s[6:7], vcc
	s_cbranch_execz .LBB18_87
; %bb.86:
	v_cvt_f32_u32_e32 v0, s50
	s_sub_i32 s8, 0, s50
	v_rcp_iflag_f32_e32 v0, v0
	v_mul_f32_e32 v0, 0x4f7ffffe, v0
	v_cvt_u32_f32_e32 v0, v0
	v_mul_lo_u32 v1, s8, v0
	v_mul_hi_u32 v1, v0, v1
	v_add_u32_e32 v0, v0, v1
	v_mul_hi_u32 v0, v24, v0
	v_mul_lo_u32 v0, v0, s50
	v_sub_u32_e32 v0, v24, v0
	v_subrev_u32_e32 v1, s50, v0
	v_cmp_le_u32_e32 vcc, s50, v0
	v_cndmask_b32_e32 v0, v0, v1, vcc
	v_subrev_u32_e32 v1, s50, v0
	v_cmp_le_u32_e32 vcc, s50, v0
	v_cndmask_b32_e32 v0, v0, v1, vcc
	v_mov_b32_e32 v1, 0
.LBB18_87:
	s_or_b64 exec, exec, s[6:7]
	s_load_dwordx2 s[4:5], s[4:5], 0x40
	v_pk_mov_b32 v[2:3], s[26:27], s[26:27] op_sel:[0,1]
	s_waitcnt lgkmcnt(0)
	v_mad_u64_u32 v[10:11], s[6:7], s33, v24, v[2:3]
	s_ashr_i32 s8, s33, 31
	v_mov_b32_e32 v2, v11
	v_cvt_f64_f32_e32 v[8:9], v19
	v_mad_u64_u32 v[2:3], s[6:7], s8, v24, v[2:3]
	v_div_scale_f64 v[12:13], s[6:7], s[4:5], s[4:5], v[8:9]
	v_mov_b32_e32 v11, v2
	v_rcp_f64_e32 v[14:15], v[12:13]
	v_lshlrev_b64 v[2:3], 2, v[10:11]
	v_mov_b32_e32 v5, s43
	v_add_co_u32_e32 v4, vcc, s42, v2
	v_add_u32_e32 v16, 0x60, v0
	v_addc_co_u32_e32 v5, vcc, v5, v3, vcc
	global_store_dword v[4:5], v16, off
	v_fma_f64 v[16:17], -v[12:13], v[14:15], 1.0
	v_fmac_f64_e32 v[14:15], v[14:15], v[16:17]
	v_fma_f64 v[16:17], -v[12:13], v[14:15], 1.0
	v_fmac_f64_e32 v[14:15], v[14:15], v[16:17]
	v_div_scale_f64 v[16:17], vcc, v[8:9], s[4:5], v[8:9]
	v_mul_f64 v[20:21], v[16:17], v[14:15]
	v_fma_f64 v[12:13], -v[12:13], v[20:21], v[16:17]
	s_nop 1
	v_div_fmas_f64 v[12:13], v[12:13], v[14:15], v[20:21]
	v_div_fixup_f64 v[8:9], v[12:13], s[4:5], v[8:9]
	v_cvt_f32_f64_e32 v8, v[8:9]
	v_mov_b32_e32 v9, s41
	v_add_co_u32_e32 v14, vcc, s40, v2
	v_addc_co_u32_e32 v15, vcc, v9, v3, vcc
	v_cmp_lt_u64_e64 s[4:5], s[50:51], 2
	s_and_b64 vcc, exec, s[4:5]
	global_store_dword v[14:15], v8, off
	s_cbranch_vccnz .LBB18_97
; %bb.88:
	s_cmp_eq_u64 s[50:51], 2
	s_cbranch_scc1 .LBB18_93
; %bb.89:
	v_add_co_u32_e32 v2, vcc, 1, v0
	v_addc_co_u32_e32 v3, vcc, 0, v1, vcc
	s_add_u32 s4, s50, -1
	v_add_co_u32_e32 v12, vcc, 4, v4
	s_addc_u32 s5, s51, -1
	v_addc_co_u32_e32 v13, vcc, 0, v5, vcc
	s_and_b32 s6, s4, -2
	s_mov_b32 s7, s5
	v_add_co_u32_e32 v14, vcc, 4, v14
	v_pk_mov_b32 v[4:5], v[2:3], v[2:3] op_sel:[0,1]
	v_mov_b32_e32 v9, v8
	v_addc_co_u32_e32 v15, vcc, 0, v15, vcc
	s_mov_b64 s[8:9], s[6:7]
	v_pk_mov_b32 v[2:3], v[0:1], v[0:1] op_sel:[0,1]
.LBB18_90:                              ; =>This Inner Loop Header: Depth=1
	v_add_u32_e32 v17, 0x61, v4
	v_add_co_u32_e32 v4, vcc, 2, v4
	v_addc_co_u32_e32 v5, vcc, 0, v5, vcc
	v_add_u32_e32 v16, 0x61, v2
	v_add_co_u32_e32 v2, vcc, 2, v2
	v_addc_co_u32_e32 v3, vcc, 0, v3, vcc
	global_store_dwordx2 v[14:15], v[8:9], off
	v_add_co_u32_e32 v14, vcc, 8, v14
	v_addc_co_u32_e32 v15, vcc, 0, v15, vcc
	s_add_u32 s8, s8, -2
	global_store_dwordx2 v[12:13], v[16:17], off
	s_addc_u32 s9, s9, -1
	v_add_co_u32_e32 v12, vcc, 8, v12
	s_cmp_lg_u64 s[8:9], 0
	v_addc_co_u32_e32 v13, vcc, 0, v13, vcc
	s_cbranch_scc1 .LBB18_90
; %bb.91:
	s_cmp_eq_u64 s[4:5], s[6:7]
	s_cbranch_scc1 .LBB18_94
; %bb.92:
	v_mov_b32_e32 v1, s7
	v_add_co_u32_e32 v10, vcc, s6, v10
	s_or_b32 s4, s4, 1
	v_add_u32_e32 v0, s6, v0
	v_addc_co_u32_e32 v11, vcc, v11, v1, vcc
	s_cbranch_execnz .LBB18_95
	s_branch .LBB18_97
.LBB18_93:
	s_mov_b32 s4, 1
	s_cbranch_execnz .LBB18_95
	s_branch .LBB18_97
.LBB18_94:
	s_mov_b32 s4, 1
                                        ; implicit-def: $vgpr10_vgpr11
                                        ; implicit-def: $vgpr0
	s_branch .LBB18_97
.LBB18_95:
	v_add_u32_e32 v9, 0x61, v0
	v_lshlrev_b64 v[0:1], 2, v[10:11]
	v_add_co_u32_e32 v2, vcc, 4, v0
	v_addc_co_u32_e32 v3, vcc, 0, v1, vcc
	v_mov_b32_e32 v1, s41
	v_add_co_u32_e32 v0, vcc, s40, v2
	v_addc_co_u32_e32 v1, vcc, v1, v3, vcc
	v_mov_b32_e32 v4, s43
	v_add_co_u32_e32 v2, vcc, s42, v2
	s_mov_b32 s5, 0
	v_addc_co_u32_e32 v3, vcc, v4, v3, vcc
	v_pk_mov_b32 v[4:5], s[50:51], s[50:51] op_sel:[0,1]
.LBB18_96:                              ; =>This Inner Loop Header: Depth=1
	global_store_dword v[2:3], v9, off
	global_store_dword v[0:1], v8, off
	v_add_co_u32_e32 v0, vcc, 4, v0
	v_addc_co_u32_e32 v1, vcc, 0, v1, vcc
	s_add_u32 s4, s4, 1
	v_add_co_u32_e32 v2, vcc, 4, v2
	v_addc_co_u32_e32 v3, vcc, 0, v3, vcc
	s_addc_u32 s5, s5, 0
	v_cmp_lt_u64_e32 vcc, s[4:5], v[4:5]
	v_add_u32_e32 v9, 1, v9
	s_cbranch_vccnz .LBB18_96
.LBB18_97:
	s_or_b64 exec, exec, s[2:3]
	v_cmp_gt_i64_e64 s[4:5], s[48:49], 0
	s_mov_b64 s[2:3], 0
	s_and_b64 s[0:1], s[0:1], s[4:5]
	s_waitcnt lgkmcnt(0)
	s_barrier
	s_and_b64 exec, exec, s[0:1]
	s_cbranch_execz .LBB18_104
; %bb.98:
	v_mad_u64_u32 v[0:1], s[0:1], s33, v24, 0
	s_ashr_i32 s4, s33, 31
	v_mov_b32_e32 v2, v1
	v_mad_u64_u32 v[2:3], s[0:1], s4, v24, v[2:3]
	v_mov_b32_e32 v1, v2
	v_lshlrev_b64 v[0:1], 2, v[0:1]
	v_mov_b32_e32 v2, s41
	v_add_co_u32_e32 v4, vcc, s40, v0
	v_addc_co_u32_e32 v5, vcc, v2, v1, vcc
	v_cmp_lt_u64_e64 s[0:1], s[48:49], 8
	s_and_b64 vcc, exec, s[0:1]
	s_cbranch_vccnz .LBB18_101
; %bb.99:
	s_and_b32 s3, s49, 0x7fffffff
	s_and_b32 s2, s48, -8
	s_mov_b64 s[0:1], 0
	s_mov_b64 s[4:5], s[2:3]
.LBB18_100:                             ; =>This Inner Loop Header: Depth=1
	v_mov_b32_e32 v1, s1
	v_add_co_u32_e32 v2, vcc, s0, v6
	v_addc_co_u32_e32 v3, vcc, v7, v1, vcc
	flat_load_dword v8, v[2:3]
	v_add_co_u32_e32 v0, vcc, s0, v4
	v_addc_co_u32_e32 v1, vcc, v5, v1, vcc
	s_add_u32 s0, s0, 32
	s_addc_u32 s1, s1, 0
	s_add_u32 s4, s4, -8
	s_addc_u32 s5, s5, -1
	s_cmp_lg_u64 s[4:5], 0
	s_waitcnt vmcnt(0) lgkmcnt(0)
	v_div_scale_f32 v9, s[6:7], v19, v19, v8
	v_rcp_f32_e32 v11, v9
	v_div_scale_f32 v10, vcc, v8, v19, v8
	v_fma_f32 v12, -v9, v11, 1.0
	v_fmac_f32_e32 v11, v12, v11
	v_mul_f32_e32 v12, v10, v11
	v_fma_f32 v13, -v9, v12, v10
	v_fmac_f32_e32 v12, v13, v11
	v_fma_f32 v9, -v9, v12, v10
	v_div_fmas_f32 v9, v9, v11, v12
	v_div_fixup_f32 v8, v9, v19, v8
	global_store_dword v[0:1], v8, off
	flat_load_dword v8, v[2:3] offset:4
	s_waitcnt vmcnt(0) lgkmcnt(0)
	v_div_scale_f32 v9, s[6:7], v19, v19, v8
	v_rcp_f32_e32 v11, v9
	v_div_scale_f32 v10, vcc, v8, v19, v8
	v_fma_f32 v12, -v9, v11, 1.0
	v_fmac_f32_e32 v11, v12, v11
	v_mul_f32_e32 v12, v10, v11
	v_fma_f32 v13, -v9, v12, v10
	v_fmac_f32_e32 v12, v13, v11
	v_fma_f32 v9, -v9, v12, v10
	v_div_fmas_f32 v9, v9, v11, v12
	v_div_fixup_f32 v8, v9, v19, v8
	global_store_dword v[0:1], v8, off offset:4
	flat_load_dword v8, v[2:3] offset:8
	s_waitcnt vmcnt(0) lgkmcnt(0)
	v_div_scale_f32 v9, s[6:7], v19, v19, v8
	v_rcp_f32_e32 v11, v9
	v_div_scale_f32 v10, vcc, v8, v19, v8
	v_fma_f32 v12, -v9, v11, 1.0
	v_fmac_f32_e32 v11, v12, v11
	v_mul_f32_e32 v12, v10, v11
	v_fma_f32 v13, -v9, v12, v10
	v_fmac_f32_e32 v12, v13, v11
	v_fma_f32 v9, -v9, v12, v10
	v_div_fmas_f32 v9, v9, v11, v12
	v_div_fixup_f32 v8, v9, v19, v8
	global_store_dword v[0:1], v8, off offset:8
	;; [unrolled: 14-line block ×7, first 2 shown]
	s_cbranch_scc1 .LBB18_100
.LBB18_101:
	s_and_b32 s0, s48, 7
	s_mov_b32 s1, 0
	s_cmp_eq_u64 s[0:1], 0
	s_cbranch_scc1 .LBB18_104
; %bb.102:
	s_mov_b64 s[4:5], s[0:1]
.LBB18_103:                             ; =>This Inner Loop Header: Depth=1
	s_lshl_b64 s[6:7], s[2:3], 2
	v_mov_b32_e32 v2, s7
	v_add_co_u32_e32 v0, vcc, s6, v6
	v_addc_co_u32_e32 v1, vcc, v7, v2, vcc
	flat_load_dword v3, v[0:1]
	v_add_co_u32_e32 v0, vcc, s6, v4
	v_addc_co_u32_e32 v1, vcc, v5, v2, vcc
	s_add_i32 s0, s2, 1
	s_add_u32 s4, s4, -1
	s_addc_u32 s5, s5, -1
	s_mov_b64 s[2:3], s[0:1]
	s_cmp_lg_u64 s[4:5], 0
	s_waitcnt vmcnt(0) lgkmcnt(0)
	v_div_scale_f32 v2, s[6:7], v19, v19, v3
	v_rcp_f32_e32 v8, v2
	v_div_scale_f32 v9, vcc, v3, v19, v3
	v_fma_f32 v10, -v2, v8, 1.0
	v_fmac_f32_e32 v8, v10, v8
	v_mul_f32_e32 v10, v9, v8
	v_fma_f32 v11, -v2, v10, v9
	v_fmac_f32_e32 v10, v11, v8
	v_fma_f32 v2, -v2, v10, v9
	v_div_fmas_f32 v2, v2, v8, v10
	v_div_fixup_f32 v2, v2, v19, v3
	global_store_dword v[0:1], v2, off
	s_cbranch_scc1 .LBB18_103
.LBB18_104:
	s_endpgm
	.section	.rodata,"a",@progbits
	.p2align	6, 0x0
	.amdhsa_kernel _Z21moe_fused_gate_kernelIfLi12ELi96ELi8ELi1EEvPvS0_PfPilllldi
		.amdhsa_group_segment_fixed_size 0
		.amdhsa_private_segment_fixed_size 0
		.amdhsa_kernarg_size 76
		.amdhsa_user_sgpr_count 6
		.amdhsa_user_sgpr_private_segment_buffer 1
		.amdhsa_user_sgpr_dispatch_ptr 0
		.amdhsa_user_sgpr_queue_ptr 0
		.amdhsa_user_sgpr_kernarg_segment_ptr 1
		.amdhsa_user_sgpr_dispatch_id 0
		.amdhsa_user_sgpr_flat_scratch_init 0
		.amdhsa_user_sgpr_kernarg_preload_length 0
		.amdhsa_user_sgpr_kernarg_preload_offset 0
		.amdhsa_user_sgpr_private_segment_size 0
		.amdhsa_uses_dynamic_stack 0
		.amdhsa_system_sgpr_private_segment_wavefront_offset 0
		.amdhsa_system_sgpr_workgroup_id_x 1
		.amdhsa_system_sgpr_workgroup_id_y 0
		.amdhsa_system_sgpr_workgroup_id_z 0
		.amdhsa_system_sgpr_workgroup_info 0
		.amdhsa_system_vgpr_workitem_id 1
		.amdhsa_next_free_vgpr 49
		.amdhsa_next_free_sgpr 52
		.amdhsa_accum_offset 52
		.amdhsa_reserve_vcc 1
		.amdhsa_reserve_flat_scratch 0
		.amdhsa_float_round_mode_32 0
		.amdhsa_float_round_mode_16_64 0
		.amdhsa_float_denorm_mode_32 3
		.amdhsa_float_denorm_mode_16_64 3
		.amdhsa_dx10_clamp 1
		.amdhsa_ieee_mode 1
		.amdhsa_fp16_overflow 0
		.amdhsa_tg_split 0
		.amdhsa_exception_fp_ieee_invalid_op 0
		.amdhsa_exception_fp_denorm_src 0
		.amdhsa_exception_fp_ieee_div_zero 0
		.amdhsa_exception_fp_ieee_overflow 0
		.amdhsa_exception_fp_ieee_underflow 0
		.amdhsa_exception_fp_ieee_inexact 0
		.amdhsa_exception_int_div_zero 0
	.end_amdhsa_kernel
	.section	.text._Z21moe_fused_gate_kernelIfLi12ELi96ELi8ELi1EEvPvS0_PfPilllldi,"axG",@progbits,_Z21moe_fused_gate_kernelIfLi12ELi96ELi8ELi1EEvPvS0_PfPilllldi,comdat
.Lfunc_end18:
	.size	_Z21moe_fused_gate_kernelIfLi12ELi96ELi8ELi1EEvPvS0_PfPilllldi, .Lfunc_end18-_Z21moe_fused_gate_kernelIfLi12ELi96ELi8ELi1EEvPvS0_PfPilllldi
                                        ; -- End function
	.section	.AMDGPU.csdata,"",@progbits
; Kernel info:
; codeLenInByte = 6100
; NumSgprs: 56
; NumVgprs: 49
; NumAgprs: 0
; TotalNumVgprs: 49
; ScratchSize: 0
; MemoryBound: 1
; FloatMode: 240
; IeeeMode: 1
; LDSByteSize: 0 bytes/workgroup (compile time only)
; SGPRBlocks: 6
; VGPRBlocks: 6
; NumSGPRsForWavesPerEU: 56
; NumVGPRsForWavesPerEU: 49
; AccumOffset: 52
; Occupancy: 8
; WaveLimiterHint : 0
; COMPUTE_PGM_RSRC2:SCRATCH_EN: 0
; COMPUTE_PGM_RSRC2:USER_SGPR: 6
; COMPUTE_PGM_RSRC2:TRAP_HANDLER: 0
; COMPUTE_PGM_RSRC2:TGID_X_EN: 1
; COMPUTE_PGM_RSRC2:TGID_Y_EN: 0
; COMPUTE_PGM_RSRC2:TGID_Z_EN: 0
; COMPUTE_PGM_RSRC2:TIDIG_COMP_CNT: 1
; COMPUTE_PGM_RSRC3_GFX90A:ACCUM_OFFSET: 12
; COMPUTE_PGM_RSRC3_GFX90A:TG_SPLIT: 0
	.section	.text._Z29moe_fused_gate_kernel_dynamicItEvPvS0_PfPilllllldi,"axG",@progbits,_Z29moe_fused_gate_kernel_dynamicItEvPvS0_PfPilllllldi,comdat
	.protected	_Z29moe_fused_gate_kernel_dynamicItEvPvS0_PfPilllllldi ; -- Begin function _Z29moe_fused_gate_kernel_dynamicItEvPvS0_PfPilllllldi
	.globl	_Z29moe_fused_gate_kernel_dynamicItEvPvS0_PfPilllllldi
	.p2align	8
	.type	_Z29moe_fused_gate_kernel_dynamicItEvPvS0_PfPilllllldi,@function
_Z29moe_fused_gate_kernel_dynamicItEvPvS0_PfPilllllldi: ; @_Z29moe_fused_gate_kernel_dynamicItEvPvS0_PfPilllllldi
; %bb.0:
	s_load_dwordx16 s[12:27], s[4:5], 0x0
	s_add_u32 flat_scratch_lo, s6, s9
	s_addc_u32 flat_scratch_hi, s7, 0
	s_add_u32 s0, s0, s9
	s_addc_u32 s1, s1, 0
	s_waitcnt lgkmcnt(0)
	s_or_b64 s[6:7], s[22:23], s[24:25]
	s_mov_b32 s6, 0
	s_cmp_lg_u64 s[6:7], 0
	s_cbranch_scc0 .LBB19_12
; %bb.1:
	s_ashr_i32 s10, s25, 31
	s_add_u32 s6, s24, s10
	s_mov_b32 s11, s10
	s_addc_u32 s7, s25, s10
	s_xor_b64 s[30:31], s[6:7], s[10:11]
	v_cvt_f32_u32_e32 v1, s30
	v_cvt_f32_u32_e32 v2, s31
	s_sub_u32 s6, 0, s30
	s_subb_u32 s7, 0, s31
	v_madmk_f32 v1, v2, 0x4f800000, v1
	v_rcp_f32_e32 v1, v1
	v_mul_f32_e32 v1, 0x5f7ffffc, v1
	v_mul_f32_e32 v2, 0x2f800000, v1
	v_trunc_f32_e32 v2, v2
	v_madmk_f32 v1, v2, 0xcf800000, v1
	v_cvt_u32_f32_e32 v2, v2
	v_cvt_u32_f32_e32 v1, v1
	v_readfirstlane_b32 s9, v2
	v_readfirstlane_b32 s33, v1
	s_mul_i32 s34, s6, s9
	s_mul_hi_u32 s36, s6, s33
	s_mul_i32 s35, s7, s33
	s_add_i32 s34, s36, s34
	s_add_i32 s34, s34, s35
	s_mul_i32 s37, s6, s33
	s_mul_hi_u32 s35, s33, s34
	s_mul_i32 s36, s33, s34
	s_mul_hi_u32 s33, s33, s37
	s_add_u32 s33, s33, s36
	s_addc_u32 s35, 0, s35
	s_mul_hi_u32 s38, s9, s37
	s_mul_i32 s37, s9, s37
	s_add_u32 s33, s33, s37
	s_mul_hi_u32 s36, s9, s34
	s_addc_u32 s33, s35, s38
	s_addc_u32 s35, s36, 0
	s_mul_i32 s34, s9, s34
	s_add_u32 s33, s33, s34
	s_addc_u32 s34, 0, s35
	v_add_co_u32_e32 v1, vcc, s33, v1
	s_cmp_lg_u64 vcc, 0
	s_addc_u32 s9, s9, s34
	v_readfirstlane_b32 s34, v1
	s_mul_i32 s33, s6, s9
	s_mul_hi_u32 s35, s6, s34
	s_add_i32 s33, s35, s33
	s_mul_i32 s7, s7, s34
	s_add_i32 s33, s33, s7
	s_mul_i32 s6, s6, s34
	s_mul_hi_u32 s35, s9, s6
	s_mul_i32 s36, s9, s6
	s_mul_i32 s38, s34, s33
	s_mul_hi_u32 s6, s34, s6
	s_mul_hi_u32 s37, s34, s33
	s_add_u32 s6, s6, s38
	s_addc_u32 s34, 0, s37
	s_add_u32 s6, s6, s36
	s_mul_hi_u32 s7, s9, s33
	s_addc_u32 s6, s34, s35
	s_addc_u32 s7, s7, 0
	s_mul_i32 s33, s9, s33
	s_add_u32 s6, s6, s33
	s_addc_u32 s7, 0, s7
	v_add_co_u32_e32 v1, vcc, s6, v1
	s_cmp_lg_u64 vcc, 0
	s_addc_u32 s9, s9, s7
	s_ashr_i32 s34, s23, 31
	s_add_u32 s6, s22, s34
	s_mov_b32 s35, s34
	s_addc_u32 s7, s23, s34
	s_xor_b64 s[36:37], s[6:7], s[34:35]
	v_readfirstlane_b32 s33, v1
	s_mul_i32 s7, s36, s9
	s_mul_hi_u32 s38, s36, s33
	s_mul_hi_u32 s6, s36, s9
	s_add_u32 s7, s38, s7
	s_addc_u32 s6, 0, s6
	s_mul_hi_u32 s39, s37, s33
	s_mul_i32 s33, s37, s33
	s_add_u32 s7, s7, s33
	s_mul_hi_u32 s38, s37, s9
	s_addc_u32 s6, s6, s39
	s_addc_u32 s7, s38, 0
	s_mul_i32 s9, s37, s9
	s_add_u32 s9, s6, s9
	s_addc_u32 s33, 0, s7
	s_mul_i32 s6, s30, s33
	s_mul_hi_u32 s7, s30, s9
	s_add_i32 s6, s7, s6
	s_mul_i32 s7, s31, s9
	s_add_i32 s38, s6, s7
	s_mul_i32 s7, s30, s9
	v_mov_b32_e32 v1, s7
	s_sub_i32 s6, s37, s38
	v_sub_co_u32_e32 v1, vcc, s36, v1
	s_cmp_lg_u64 vcc, 0
	s_subb_u32 s36, s6, s31
	v_subrev_co_u32_e64 v2, s[6:7], s30, v1
	s_cmp_lg_u64 s[6:7], 0
	s_subb_u32 s6, s36, 0
	s_cmp_ge_u32 s6, s31
	v_readfirstlane_b32 s36, v2
	s_cselect_b32 s7, -1, 0
	s_cmp_ge_u32 s36, s30
	s_cselect_b32 s36, -1, 0
	s_cmp_eq_u32 s6, s31
	s_cselect_b32 s6, s36, s7
	s_add_u32 s7, s9, 1
	s_addc_u32 s36, s33, 0
	s_add_u32 s39, s9, 2
	s_addc_u32 s40, s33, 0
	s_cmp_lg_u32 s6, 0
	s_cselect_b32 s6, s39, s7
	s_cselect_b32 s7, s40, s36
	s_cmp_lg_u64 vcc, 0
	s_subb_u32 s36, s37, s38
	s_cmp_ge_u32 s36, s31
	v_readfirstlane_b32 s38, v1
	s_cselect_b32 s37, -1, 0
	s_cmp_ge_u32 s38, s30
	s_cselect_b32 s30, -1, 0
	s_cmp_eq_u32 s36, s31
	s_cselect_b32 s30, s30, s37
	s_cmp_lg_u32 s30, 0
	s_cselect_b32 s7, s7, s33
	s_cselect_b32 s6, s6, s9
	s_xor_b64 s[10:11], s[34:35], s[10:11]
	s_xor_b64 s[6:7], s[6:7], s[10:11]
	s_sub_u32 s10, s6, s10
	s_cbranch_execnz .LBB19_3
.LBB19_2:
	v_cvt_f32_u32_e32 v1, s24
	s_sub_i32 s6, 0, s24
	v_rcp_iflag_f32_e32 v1, v1
	v_mul_f32_e32 v1, 0x4f7ffffe, v1
	v_cvt_u32_f32_e32 v1, v1
	v_readfirstlane_b32 s7, v1
	s_mul_i32 s6, s6, s7
	s_mul_hi_u32 s6, s7, s6
	s_add_i32 s7, s7, s6
	s_mul_hi_u32 s6, s22, s7
	s_mul_i32 s9, s6, s24
	s_sub_i32 s9, s22, s9
	s_add_i32 s7, s6, 1
	s_sub_i32 s10, s9, s24
	s_cmp_ge_u32 s9, s24
	s_cselect_b32 s6, s7, s6
	s_cselect_b32 s9, s10, s9
	s_add_i32 s7, s6, 1
	s_cmp_ge_u32 s9, s24
	s_cselect_b32 s10, s7, s6
.LBB19_3:
	s_mov_b32 s6, 0
	s_mov_b32 s7, s25
	s_cmp_lg_u64 s[6:7], 0
	s_cbranch_scc0 .LBB19_13
; %bb.4:
	s_ashr_i32 s6, s25, 31
	s_add_u32 s28, s24, s6
	s_mov_b32 s7, s6
	s_addc_u32 s29, s25, s6
	s_xor_b64 s[30:31], s[28:29], s[6:7]
	v_cvt_f32_u32_e32 v1, s30
	v_cvt_f32_u32_e32 v2, s31
	s_sub_u32 s9, 0, s30
	s_subb_u32 s11, 0, s31
	v_madmk_f32 v1, v2, 0x4f800000, v1
	v_rcp_f32_e32 v1, v1
	v_mul_f32_e32 v1, 0x5f7ffffc, v1
	v_mul_f32_e32 v2, 0x2f800000, v1
	v_trunc_f32_e32 v2, v2
	v_madmk_f32 v1, v2, 0xcf800000, v1
	v_cvt_u32_f32_e32 v2, v2
	v_cvt_u32_f32_e32 v1, v1
	v_readfirstlane_b32 s33, v2
	v_readfirstlane_b32 s34, v1
	s_mul_i32 s35, s9, s33
	s_mul_hi_u32 s37, s9, s34
	s_mul_i32 s36, s11, s34
	s_add_i32 s35, s37, s35
	s_add_i32 s35, s35, s36
	s_mul_i32 s38, s9, s34
	s_mul_hi_u32 s36, s34, s35
	s_mul_i32 s37, s34, s35
	s_mul_hi_u32 s34, s34, s38
	s_add_u32 s34, s34, s37
	s_addc_u32 s36, 0, s36
	s_mul_hi_u32 s39, s33, s38
	s_mul_i32 s38, s33, s38
	s_add_u32 s34, s34, s38
	s_mul_hi_u32 s37, s33, s35
	s_addc_u32 s34, s36, s39
	s_addc_u32 s36, s37, 0
	s_mul_i32 s35, s33, s35
	s_add_u32 s34, s34, s35
	s_addc_u32 s35, 0, s36
	v_add_co_u32_e32 v1, vcc, s34, v1
	s_cmp_lg_u64 vcc, 0
	s_addc_u32 s33, s33, s35
	v_readfirstlane_b32 s35, v1
	s_mul_i32 s34, s9, s33
	s_mul_hi_u32 s36, s9, s35
	s_add_i32 s34, s36, s34
	s_mul_i32 s11, s11, s35
	s_add_i32 s34, s34, s11
	s_mul_i32 s9, s9, s35
	s_mul_hi_u32 s36, s33, s9
	s_mul_i32 s37, s33, s9
	s_mul_i32 s39, s35, s34
	s_mul_hi_u32 s9, s35, s9
	s_mul_hi_u32 s38, s35, s34
	s_add_u32 s9, s9, s39
	s_addc_u32 s35, 0, s38
	s_add_u32 s9, s9, s37
	s_mul_hi_u32 s11, s33, s34
	s_addc_u32 s9, s35, s36
	s_addc_u32 s11, s11, 0
	s_mul_i32 s34, s33, s34
	s_add_u32 s9, s9, s34
	s_addc_u32 s11, 0, s11
	v_add_co_u32_e32 v1, vcc, s9, v1
	s_cmp_lg_u64 vcc, 0
	s_addc_u32 s9, s33, s11
	s_lshr_b32 s9, s9, 26
	s_mul_i32 s11, s31, s9
	s_mul_hi_u32 s33, s30, s9
	s_add_i32 s33, s33, s11
	s_mul_i32 s34, s30, s9
	s_sub_i32 s11, 0, s33
	v_sub_co_u32_e64 v1, s[34:35], 64, s34
	s_cmp_lg_u64 s[34:35], 0
	s_subb_u32 s11, s11, s31
	v_subrev_co_u32_e32 v2, vcc, s30, v1
	s_cmp_lg_u64 vcc, 0
	s_subb_u32 s11, s11, 0
	s_cmp_ge_u32 s11, s31
	v_readfirstlane_b32 s37, v2
	s_cselect_b32 s36, -1, 0
	s_cmp_ge_u32 s37, s30
	s_cselect_b32 s37, -1, 0
	s_cmp_eq_u32 s11, s31
	s_cselect_b32 s11, s37, s36
	s_add_u32 s36, s9, 1
	s_addc_u32 s37, 0, 0
	s_add_u32 s38, s9, 2
	s_addc_u32 s39, 0, 0
	s_cmp_lg_u32 s11, 0
	s_cselect_b32 s11, s38, s36
	s_cselect_b32 s36, s39, s37
	s_cmp_lg_u64 s[34:35], 0
	s_subb_u32 s33, 0, s33
	s_cmp_ge_u32 s33, s31
	v_readfirstlane_b32 s35, v1
	s_cselect_b32 s34, -1, 0
	s_cmp_ge_u32 s35, s30
	s_cselect_b32 s30, -1, 0
	s_cmp_eq_u32 s33, s31
	s_cselect_b32 s30, s30, s34
	s_cmp_lg_u32 s30, 0
	s_cselect_b32 s31, s36, 0
	s_cselect_b32 s30, s11, s9
	s_xor_b64 s[30:31], s[30:31], s[6:7]
	s_sub_u32 s30, s30, s6
	s_subb_u32 s31, s31, s6
	s_cbranch_execnz .LBB19_6
.LBB19_5:
	v_cvt_f32_u32_e32 v1, s24
	s_sub_i32 s6, 0, s24
	s_mov_b32 s31, 0
	v_rcp_iflag_f32_e32 v1, v1
	v_mul_f32_e32 v1, 0x4f7ffffe, v1
	v_cvt_u32_f32_e32 v1, v1
	v_readfirstlane_b32 s7, v1
	s_mul_i32 s6, s6, s7
	s_mul_hi_u32 s6, s7, s6
	s_add_i32 s7, s7, s6
	s_lshr_b32 s6, s7, 26
	s_mul_i32 s9, s6, s24
	s_sub_i32 s9, 64, s9
	s_add_i32 s7, s6, 1
	s_sub_i32 s11, s9, s24
	s_cmp_ge_u32 s9, s24
	s_cselect_b32 s6, s7, s6
	s_cselect_b32 s9, s11, s9
	s_add_i32 s7, s6, 1
	s_cmp_ge_u32 s9, s24
	s_cselect_b32 s30, s7, s6
.LBB19_6:
	v_cmp_gt_i64_e64 s[6:7], s[30:31], 1
	s_and_b64 s[6:7], s[6:7], exec
	s_cselect_b32 s6, s30, 1
	s_abs_i32 s7, s24
	v_cvt_f32_u32_e32 v1, s7
	s_sub_i32 s9, 0, s7
	v_rcp_iflag_f32_e32 v2, v1
	v_and_b32_e32 v1, 0x3ff, v0
	v_bfe_u32 v0, v0, 10, 10
	v_add_u32_e32 v0, s8, v0
	v_mul_f32_e32 v2, 0x4f7ffffe, v2
	v_cvt_u32_f32_e32 v2, v2
	s_ashr_i32 s8, s24, 31
	v_mul_lo_u32 v3, s9, v2
	v_mul_hi_u32 v3, v2, v3
	v_add_u32_e32 v2, v2, v3
	v_mul_hi_u32 v2, v1, v2
	v_mul_lo_u32 v3, v2, s7
	v_sub_u32_e32 v3, v1, v3
	v_add_u32_e32 v4, 1, v2
	v_cmp_le_u32_e32 vcc, s7, v3
	v_cndmask_b32_e32 v2, v2, v4, vcc
	v_subrev_u32_e32 v4, s7, v3
	v_cndmask_b32_e32 v3, v3, v4, vcc
	v_add_u32_e32 v4, 1, v2
	v_cmp_le_u32_e32 vcc, s7, v3
	v_cndmask_b32_e32 v2, v2, v4, vcc
	v_xor_b32_e32 v2, s8, v2
	v_subrev_u32_e32 v2, s8, v2
	v_mad_u64_u32 v[6:7], s[6:7], v0, s6, v[2:3]
	v_mov_b32_e32 v7, 0
	v_cmp_gt_i64_e32 vcc, s[20:21], v[6:7]
	s_and_saveexec_b64 s[6:7], vcc
	s_cbranch_execz .LBB19_221
; %bb.7:
	v_mul_lo_u32 v0, v2, s24
	v_sub_u32_e32 v12, v1, v0
	s_cmp_gt_i32 s10, 0
	v_mul_lo_u32 v0, v12, s10
	s_cselect_b64 s[20:21], -1, 0
	s_cmp_lt_i32 s10, 1
	v_mov_b32_e32 v4, 0xff7fffff
	v_mov_b32_e32 v5, 0xff7fffff
	;; [unrolled: 1-line block ×3, first 2 shown]
	buffer_store_dword v7, off, s[0:3], 0 offset:124
	buffer_store_dword v7, off, s[0:3], 0 offset:120
	;; [unrolled: 1-line block ×31, first 2 shown]
	buffer_store_dword v7, off, s[0:3], 0
	buffer_store_dword v7, off, s[0:3], 0 offset:252
	buffer_store_dword v7, off, s[0:3], 0 offset:248
	;; [unrolled: 1-line block ×32, first 2 shown]
	s_cbranch_scc1 .LBB19_85
; %bb.8:
	v_mad_u64_u32 v[4:5], s[8:9], s22, v6, 0
	s_bfe_i64 s[6:7], s[22:23], 0x200000
	v_mov_b32_e32 v8, v5
	v_mad_u64_u32 v[8:9], s[6:7], s7, v6, v[8:9]
	s_cmp_lg_u32 s10, 1
	v_mov_b32_e32 v5, v8
	s_cselect_b64 s[28:29], -1, 0
	s_cmp_eq_u32 s10, 1
	v_ashrrev_i32_e32 v1, 31, v0
	s_cbranch_scc1 .LBB19_14
; %bb.9:
	v_lshlrev_b64 v[8:9], 1, v[4:5]
	v_mov_b32_e32 v3, s13
	v_add_co_u32_e32 v8, vcc, s12, v8
	v_addc_co_u32_e32 v3, vcc, v3, v9, vcc
	v_lshlrev_b64 v[10:11], 1, v[0:1]
	v_add_co_u32_e32 v8, vcc, v8, v10
	v_addc_co_u32_e32 v9, vcc, v3, v11, vcc
	v_mov_b32_e32 v3, s15
	v_add_co_u32_e32 v10, vcc, s14, v10
	s_and_b32 s8, s10, 0x7ffffffe
	v_addc_co_u32_e32 v11, vcc, v3, v11, vcc
	v_mov_b32_e32 v3, 0
	v_mov_b32_e32 v13, 0x80
	s_mov_b32 s6, s8
.LBB19_10:                              ; =>This Inner Loop Header: Depth=1
	global_load_dword v14, v[8:9], off
	global_load_dword v15, v[10:11], off
	v_add_co_u32_e32 v10, vcc, 4, v10
	v_addc_co_u32_e32 v11, vcc, 0, v11, vcc
	v_add_co_u32_e32 v8, vcc, 4, v8
	s_add_i32 s6, s6, -2
	v_addc_co_u32_e32 v9, vcc, 0, v9, vcc
	s_cmp_lg_u32 s6, 0
	s_waitcnt vmcnt(1)
	v_and_b32_e32 v16, 0xffff0000, v14
	v_lshlrev_b32_e32 v14, 16, v14
	s_waitcnt vmcnt(0)
	v_and_b32_e32 v17, 0xffff0000, v15
	v_lshlrev_b32_e32 v15, 16, v15
	buffer_store_dword v16, v3, s[0:3], 0 offen offset:4
	buffer_store_dword v14, v3, s[0:3], 0 offen
	buffer_store_dword v17, v13, s[0:3], 0 offen offset:4
	buffer_store_dword v15, v13, s[0:3], 0 offen
	v_add_u32_e32 v3, 8, v3
	v_add_u32_e32 v13, 8, v13
	s_cbranch_scc1 .LBB19_10
; %bb.11:
	s_cmp_lg_u32 s8, s10
	s_cselect_b64 s[6:7], -1, 0
	s_and_b64 vcc, exec, s[6:7]
	s_cbranch_vccnz .LBB19_15
	s_branch .LBB19_17
.LBB19_12:
                                        ; implicit-def: $sgpr10_sgpr11
	s_branch .LBB19_2
.LBB19_13:
                                        ; implicit-def: $sgpr30_sgpr31
	s_branch .LBB19_5
.LBB19_14:
	s_mov_b32 s8, 0
	s_cbranch_execz .LBB19_17
.LBB19_15:
	s_lshl_b32 s7, s8, 2
	v_mov_b32_e32 v3, 0x80
	v_mov_b32_e32 v8, 0
	s_sub_i32 s6, s10, s8
	v_add_u32_e32 v3, s7, v3
	v_add_u32_e32 v10, s7, v8
	v_lshlrev_b64 v[4:5], 1, v[4:5]
	v_lshlrev_b64 v[8:9], 1, v[0:1]
	s_lshl_b32 s7, s8, 1
	v_add_co_u32_e32 v1, vcc, v4, v8
	s_add_u32 s8, s12, s7
	v_addc_co_u32_e32 v5, vcc, v5, v9, vcc
	s_addc_u32 s9, s13, 0
	v_mov_b32_e32 v11, s9
	v_add_co_u32_e32 v4, vcc, s8, v1
	s_add_u32 s7, s14, s7
	v_addc_co_u32_e32 v5, vcc, v11, v5, vcc
	s_addc_u32 s8, s15, 0
	v_mov_b32_e32 v1, s8
	v_add_co_u32_e32 v8, vcc, s7, v8
	v_addc_co_u32_e32 v9, vcc, v1, v9, vcc
.LBB19_16:                              ; =>This Inner Loop Header: Depth=1
	global_load_ushort v1, v[4:5], off
	global_load_ushort v11, v[8:9], off
	v_add_co_u32_e32 v4, vcc, 2, v4
	v_addc_co_u32_e32 v5, vcc, 0, v5, vcc
	s_add_i32 s6, s6, -1
	v_add_co_u32_e32 v8, vcc, 2, v8
	v_addc_co_u32_e32 v9, vcc, 0, v9, vcc
	s_cmp_lg_u32 s6, 0
	s_waitcnt vmcnt(1)
	v_lshlrev_b32_e32 v1, 16, v1
	s_waitcnt vmcnt(0)
	v_lshlrev_b32_e32 v11, 16, v11
	buffer_store_dword v1, v10, s[0:3], 0 offen
	buffer_store_dword v11, v3, s[0:3], 0 offen
	v_add_u32_e32 v3, 4, v3
	v_add_u32_e32 v10, 4, v10
	s_cbranch_scc1 .LBB19_16
.LBB19_17:
	s_andn2_b64 vcc, exec, s[28:29]
	s_cbranch_vccnz .LBB19_25
; %bb.18:
	s_add_i32 s6, s10, -2
	s_lshr_b32 s11, s6, 1
	s_add_i32 s11, s11, 1
	s_cmp_lt_u32 s6, 6
	s_mov_b32 s12, 0
	s_cbranch_scc1 .LBB19_21
; %bb.19:
	s_and_b32 s13, s11, -4
	v_mov_b32_e32 v1, 0
	s_mov_b32 s14, 0xbfb8aa3b
	s_mov_b32 s15, 0x42ce8ed0
	;; [unrolled: 1-line block ×3, first 2 shown]
	v_mov_b32_e32 v3, 0x7f800000
.LBB19_20:                              ; =>This Inner Loop Header: Depth=1
	buffer_load_dword v13, v1, s[0:3], 0 offen offset:4
	buffer_load_dword v16, v1, s[0:3], 0 offen
	buffer_load_dword v17, v1, s[0:3], 0 offen offset:12
	buffer_load_dword v18, v1, s[0:3], 0 offen offset:8
	;; [unrolled: 1-line block ×6, first 2 shown]
	s_add_i32 s12, s12, 8
	s_add_i32 s13, s13, -4
	s_cmp_lg_u32 s13, 0
	s_waitcnt vmcnt(7)
	v_mul_f32_e32 v10, 0xbfb8aa3b, v13
	s_waitcnt vmcnt(6)
	v_mul_f32_e32 v11, 0xbfb8aa3b, v16
	v_rndne_f32_e32 v19, v10
	v_fma_f32 v20, v13, s14, -v10
	s_waitcnt vmcnt(5)
	v_mul_f32_e32 v14, 0xbfb8aa3b, v17
	v_rndne_f32_e32 v21, v11
	v_fma_f32 v22, v16, s14, -v11
	v_sub_f32_e32 v10, v10, v19
	v_fmac_f32_e32 v20, 0xb2a5705f, v13
	s_waitcnt vmcnt(4)
	v_mul_f32_e32 v15, 0xbfb8aa3b, v18
	v_rndne_f32_e32 v23, v14
	v_fma_f32 v24, v17, s14, -v14
	v_sub_f32_e32 v11, v11, v21
	v_fmac_f32_e32 v22, 0xb2a5705f, v16
	v_add_f32_e32 v10, v10, v20
	v_rndne_f32_e32 v25, v15
	v_fma_f32 v26, v18, s14, -v15
	v_cvt_i32_f32_e32 v19, v19
	v_sub_f32_e32 v14, v14, v23
	v_fmac_f32_e32 v24, 0xb2a5705f, v17
	v_add_f32_e32 v11, v11, v22
	v_exp_f32_e32 v10, v10
	v_cvt_i32_f32_e32 v21, v21
	v_sub_f32_e32 v15, v15, v25
	v_fmac_f32_e32 v26, 0xb2a5705f, v18
	v_add_f32_e32 v14, v14, v24
	v_exp_f32_e32 v11, v11
	v_cvt_i32_f32_e32 v23, v23
	v_add_f32_e32 v15, v15, v26
	v_exp_f32_e32 v14, v14
	v_cvt_i32_f32_e32 v25, v25
	v_exp_f32_e32 v15, v15
	v_ldexp_f32 v10, v10, v19
	v_cmp_nlt_f32_e32 vcc, s15, v13
	v_ldexp_f32 v11, v11, v21
	v_cndmask_b32_e32 v10, 0, v10, vcc
	v_cmp_nlt_f32_e32 vcc, s15, v16
	v_ldexp_f32 v14, v14, v23
	v_cndmask_b32_e32 v19, 0, v11, vcc
	;; [unrolled: 3-line block ×3, first 2 shown]
	v_cmp_nlt_f32_e32 vcc, s15, v18
	v_cndmask_b32_e32 v20, 0, v15, vcc
	v_cmp_ngt_f32_e32 vcc, s23, v13
	v_cndmask_b32_e32 v11, v3, v10, vcc
	v_cmp_ngt_f32_e32 vcc, s23, v16
	v_cndmask_b32_e32 v10, v3, v19, vcc
	v_pk_add_f32 v[10:11], v[10:11], 1.0 op_sel_hi:[1,0]
	v_div_scale_f32 v19, s[6:7], v10, v10, 1.0
	v_div_scale_f32 v21, s[6:7], v11, v11, 1.0
	v_rcp_f32_e32 v24, v19
	v_rcp_f32_e32 v25, v21
	v_cmp_ngt_f32_e32 vcc, s23, v17
	v_cndmask_b32_e32 v15, v3, v14, vcc
	v_cmp_ngt_f32_e32 vcc, s23, v18
	v_cndmask_b32_e32 v14, v3, v20, vcc
	v_fma_f32 v28, -v19, v24, 1.0
	v_pk_add_f32 v[14:15], v[14:15], 1.0 op_sel_hi:[1,0]
	v_div_scale_f32 v20, vcc, 1.0, v10, 1.0
	v_fma_f32 v29, -v21, v25, 1.0
	v_fmac_f32_e32 v24, v28, v24
	v_div_scale_f32 v22, s[6:7], 1.0, v11, 1.0
	v_div_scale_f32 v23, s[8:9], v14, v14, 1.0
	v_fmac_f32_e32 v25, v29, v25
	v_mul_f32_e32 v28, v20, v24
	v_rcp_f32_e32 v26, v23
	v_mul_f32_e32 v29, v22, v25
	v_fma_f32 v31, -v19, v28, v20
	v_fma_f32 v32, -v21, v29, v22
	v_fmac_f32_e32 v28, v31, v24
	v_fmac_f32_e32 v29, v32, v25
	v_fma_f32 v19, -v19, v28, v20
	v_fma_f32 v20, -v21, v29, v22
	v_div_fmas_f32 v19, v19, v24, v28
	s_mov_b64 vcc, s[6:7]
	v_fma_f32 v30, -v23, v26, 1.0
	v_div_fixup_f32 v10, v19, v10, 1.0
	v_div_fmas_f32 v19, v20, v25, v29
	v_cmp_o_f32_e32 vcc, v16, v16
	v_div_scale_f32 v27, s[8:9], 1.0, v14, 1.0
	v_fmac_f32_e32 v26, v30, v26
	v_div_fixup_f32 v11, v19, v11, 1.0
	v_cndmask_b32_e32 v10, 0, v10, vcc
	v_cmp_o_f32_e32 vcc, v13, v13
	v_mul_f32_e32 v30, v27, v26
	v_cndmask_b32_e32 v11, 0, v11, vcc
	buffer_store_dword v10, v1, s[0:3], 0 offen
	buffer_store_dword v11, v1, s[0:3], 0 offen offset:4
	v_div_scale_f32 v10, s[6:7], v15, v15, 1.0
	v_fma_f32 v33, -v23, v30, v27
	v_rcp_f32_e32 v11, v10
	v_fmac_f32_e32 v30, v33, v26
	v_fma_f32 v21, -v23, v30, v27
	s_mov_b64 vcc, s[8:9]
	v_div_fmas_f32 v13, v21, v26, v30
	v_div_fixup_f32 v13, v13, v14, 1.0
	v_fma_f32 v14, -v10, v11, 1.0
	v_fmac_f32_e32 v11, v14, v11
	v_div_scale_f32 v14, vcc, 1.0, v15, 1.0
	v_mul_f32_e32 v16, v14, v11
	v_fma_f32 v19, -v10, v16, v14
	v_fmac_f32_e32 v16, v19, v11
	v_fma_f32 v10, -v10, v16, v14
	v_div_fmas_f32 v10, v10, v11, v16
	s_waitcnt vmcnt(4)
	v_mul_f32_e32 v11, 0xbfb8aa3b, v9
	v_rndne_f32_e32 v14, v11
	v_sub_f32_e32 v16, v11, v14
	v_fma_f32 v11, v9, s14, -v11
	v_fmac_f32_e32 v11, 0xb2a5705f, v9
	v_add_f32_e32 v11, v16, v11
	v_exp_f32_e32 v11, v11
	v_cvt_i32_f32_e32 v14, v14
	v_div_fixup_f32 v10, v10, v15, 1.0
	v_cmp_o_f32_e32 vcc, v17, v17
	v_cndmask_b32_e32 v15, 0, v10, vcc
	v_ldexp_f32 v10, v11, v14
	v_mul_f32_e32 v11, 0xbfb8aa3b, v8
	v_rndne_f32_e32 v14, v11
	v_sub_f32_e32 v16, v11, v14
	v_fma_f32 v11, v8, s14, -v11
	v_fmac_f32_e32 v11, 0xb2a5705f, v8
	v_add_f32_e32 v11, v16, v11
	v_exp_f32_e32 v16, v11
	v_cvt_i32_f32_e32 v14, v14
	v_cmp_nlt_f32_e32 vcc, s15, v9
	v_cndmask_b32_e32 v10, 0, v10, vcc
	v_cmp_ngt_f32_e32 vcc, s23, v9
	v_cndmask_b32_e32 v11, v3, v10, vcc
	v_ldexp_f32 v10, v16, v14
	v_cmp_nlt_f32_e32 vcc, s15, v8
	v_cndmask_b32_e32 v10, 0, v10, vcc
	v_cmp_ngt_f32_e32 vcc, s23, v8
	v_cndmask_b32_e32 v10, v3, v10, vcc
	v_pk_add_f32 v[10:11], v[10:11], 1.0 op_sel_hi:[1,0]
	v_div_scale_f32 v14, s[6:7], v10, v10, 1.0
	v_rcp_f32_e32 v16, v14
	v_cmp_o_f32_e32 vcc, v18, v18
	v_cndmask_b32_e32 v13, 0, v13, vcc
	buffer_store_dword v13, v1, s[0:3], 0 offen offset:8
	buffer_store_dword v15, v1, s[0:3], 0 offen offset:12
	v_fma_f32 v13, -v14, v16, 1.0
	v_fmac_f32_e32 v16, v13, v16
	v_div_scale_f32 v13, vcc, 1.0, v10, 1.0
	v_mul_f32_e32 v15, v13, v16
	v_fma_f32 v17, -v14, v15, v13
	v_fmac_f32_e32 v15, v17, v16
	v_fma_f32 v13, -v14, v15, v13
	v_div_scale_f32 v14, s[6:7], v11, v11, 1.0
	v_rcp_f32_e32 v17, v14
	v_div_fmas_f32 v13, v13, v16, v15
	v_div_fixup_f32 v13, v13, v10, 1.0
	v_fma_f32 v10, -v14, v17, 1.0
	v_fmac_f32_e32 v17, v10, v17
	v_div_scale_f32 v10, vcc, 1.0, v11, 1.0
	v_mul_f32_e32 v15, v10, v17
	v_fma_f32 v16, -v14, v15, v10
	v_fmac_f32_e32 v15, v16, v17
	v_fma_f32 v10, -v14, v15, v10
	s_waitcnt vmcnt(4)
	v_mul_f32_e32 v14, 0xbfb8aa3b, v5
	v_div_fmas_f32 v10, v10, v17, v15
	v_rndne_f32_e32 v15, v14
	v_sub_f32_e32 v16, v14, v15
	v_fma_f32 v14, v5, s14, -v14
	v_fmac_f32_e32 v14, 0xb2a5705f, v5
	v_add_f32_e32 v14, v16, v14
	v_exp_f32_e32 v14, v14
	v_cvt_i32_f32_e32 v15, v15
	v_div_fixup_f32 v10, v10, v11, 1.0
	v_cmp_o_f32_e32 vcc, v9, v9
	v_mul_f32_e32 v11, 0xbfb8aa3b, v4
	v_cndmask_b32_e32 v9, 0, v10, vcc
	v_ldexp_f32 v10, v14, v15
	v_rndne_f32_e32 v14, v11
	v_sub_f32_e32 v15, v11, v14
	v_fma_f32 v11, v4, s14, -v11
	v_fmac_f32_e32 v11, 0xb2a5705f, v4
	v_add_f32_e32 v11, v15, v11
	v_exp_f32_e32 v15, v11
	v_cvt_i32_f32_e32 v14, v14
	v_cmp_nlt_f32_e32 vcc, s15, v5
	v_cndmask_b32_e32 v10, 0, v10, vcc
	v_cmp_ngt_f32_e32 vcc, s23, v5
	v_cndmask_b32_e32 v11, v3, v10, vcc
	v_ldexp_f32 v10, v15, v14
	v_cmp_nlt_f32_e32 vcc, s15, v4
	v_cndmask_b32_e32 v10, 0, v10, vcc
	v_cmp_ngt_f32_e32 vcc, s23, v4
	v_cndmask_b32_e32 v10, v3, v10, vcc
	v_pk_add_f32 v[10:11], v[10:11], 1.0 op_sel_hi:[1,0]
	v_div_scale_f32 v14, s[6:7], v10, v10, 1.0
	v_rcp_f32_e32 v15, v14
	v_cmp_o_f32_e32 vcc, v8, v8
	v_cndmask_b32_e32 v8, 0, v13, vcc
	buffer_store_dword v8, v1, s[0:3], 0 offen offset:16
	buffer_store_dword v9, v1, s[0:3], 0 offen offset:20
	v_fma_f32 v8, -v14, v15, 1.0
	v_fmac_f32_e32 v15, v8, v15
	v_div_scale_f32 v8, vcc, 1.0, v10, 1.0
	v_mul_f32_e32 v9, v8, v15
	v_fma_f32 v13, -v14, v9, v8
	v_fmac_f32_e32 v9, v13, v15
	v_div_scale_f32 v13, s[6:7], v11, v11, 1.0
	v_fma_f32 v8, -v14, v9, v8
	v_rcp_f32_e32 v14, v13
	v_div_fmas_f32 v8, v8, v15, v9
	v_div_fixup_f32 v8, v8, v10, 1.0
	v_fma_f32 v9, -v13, v14, 1.0
	v_fmac_f32_e32 v14, v9, v14
	v_div_scale_f32 v9, vcc, 1.0, v11, 1.0
	v_mul_f32_e32 v10, v9, v14
	v_fma_f32 v15, -v13, v10, v9
	v_fmac_f32_e32 v10, v15, v14
	v_fma_f32 v9, -v13, v10, v9
	v_div_fmas_f32 v9, v9, v14, v10
	v_div_fixup_f32 v9, v9, v11, 1.0
	v_cmp_o_f32_e32 vcc, v5, v5
	v_cndmask_b32_e32 v5, 0, v9, vcc
	v_cmp_o_f32_e32 vcc, v4, v4
	v_cndmask_b32_e32 v4, 0, v8, vcc
	buffer_store_dword v4, v1, s[0:3], 0 offen offset:24
	buffer_store_dword v5, v1, s[0:3], 0 offen offset:28
	v_add_u32_e32 v1, 32, v1
	s_cbranch_scc1 .LBB19_20
.LBB19_21:
	s_and_b32 s8, s11, 3
	s_cmp_eq_u32 s8, 0
	s_cbranch_scc1 .LBB19_24
; %bb.22:
	s_lshl_b32 s6, s12, 2
	v_mov_b32_e32 v1, 0
	v_add_u32_e32 v1, s6, v1
	s_mov_b32 s9, 0xbfb8aa3b
	s_mov_b32 s11, 0x42ce8ed0
	;; [unrolled: 1-line block ×3, first 2 shown]
	v_mov_b32_e32 v3, 0x7f800000
.LBB19_23:                              ; =>This Inner Loop Header: Depth=1
	buffer_load_dword v8, v1, s[0:3], 0 offen offset:4
	buffer_load_dword v9, v1, s[0:3], 0 offen
	s_add_i32 s8, s8, -1
	s_cmp_lg_u32 s8, 0
	s_waitcnt vmcnt(1)
	v_mul_f32_e32 v4, 0xbfb8aa3b, v8
	s_waitcnt vmcnt(0)
	v_mul_f32_e32 v5, 0xbfb8aa3b, v9
	v_rndne_f32_e32 v10, v4
	v_fma_f32 v11, v8, s9, -v4
	v_rndne_f32_e32 v13, v5
	v_fma_f32 v14, v9, s9, -v5
	v_sub_f32_e32 v4, v4, v10
	v_fmac_f32_e32 v11, 0xb2a5705f, v8
	v_sub_f32_e32 v5, v5, v13
	v_fmac_f32_e32 v14, 0xb2a5705f, v9
	v_add_f32_e32 v4, v4, v11
	v_cvt_i32_f32_e32 v10, v10
	v_add_f32_e32 v5, v5, v14
	v_exp_f32_e32 v4, v4
	v_cvt_i32_f32_e32 v13, v13
	v_exp_f32_e32 v5, v5
	v_cmp_nlt_f32_e32 vcc, s11, v8
	v_ldexp_f32 v4, v4, v10
	v_cndmask_b32_e32 v4, 0, v4, vcc
	v_ldexp_f32 v5, v5, v13
	v_cmp_nlt_f32_e32 vcc, s11, v9
	v_cndmask_b32_e32 v10, 0, v5, vcc
	v_cmp_ngt_f32_e32 vcc, s12, v8
	v_cndmask_b32_e32 v5, v3, v4, vcc
	v_cmp_ngt_f32_e32 vcc, s12, v9
	v_cndmask_b32_e32 v4, v3, v10, vcc
	v_pk_add_f32 v[4:5], v[4:5], 1.0 op_sel_hi:[1,0]
	v_div_scale_f32 v10, s[6:7], v4, v4, 1.0
	v_div_scale_f32 v13, s[6:7], v5, v5, 1.0
	v_rcp_f32_e32 v14, v10
	v_rcp_f32_e32 v15, v13
	v_div_scale_f32 v11, vcc, 1.0, v4, 1.0
	v_fma_f32 v17, -v10, v14, 1.0
	v_fma_f32 v18, -v13, v15, 1.0
	v_fmac_f32_e32 v14, v17, v14
	v_div_scale_f32 v16, s[6:7], 1.0, v5, 1.0
	v_fmac_f32_e32 v15, v18, v15
	v_mul_f32_e32 v17, v11, v14
	v_mul_f32_e32 v18, v16, v15
	v_fma_f32 v19, -v10, v17, v11
	v_fma_f32 v20, -v13, v18, v16
	v_fmac_f32_e32 v17, v19, v14
	v_fmac_f32_e32 v18, v20, v15
	v_fma_f32 v10, -v10, v17, v11
	v_fma_f32 v11, -v13, v18, v16
	v_div_fmas_f32 v10, v10, v14, v17
	s_mov_b64 vcc, s[6:7]
	v_div_fixup_f32 v4, v10, v4, 1.0
	v_div_fmas_f32 v10, v11, v15, v18
	v_cmp_o_f32_e32 vcc, v9, v9
	v_div_fixup_f32 v5, v10, v5, 1.0
	v_cndmask_b32_e32 v4, 0, v4, vcc
	v_cmp_o_f32_e32 vcc, v8, v8
	v_cndmask_b32_e32 v5, 0, v5, vcc
	buffer_store_dword v4, v1, s[0:3], 0 offen
	buffer_store_dword v5, v1, s[0:3], 0 offen offset:4
	v_add_u32_e32 v1, 8, v1
	s_cbranch_scc1 .LBB19_23
.LBB19_24:
	s_and_b32 s9, s10, 0x7ffffffe
	s_cmp_lg_u32 s9, s10
	s_cselect_b64 s[6:7], -1, 0
	s_and_b64 vcc, exec, s[6:7]
	s_cbranch_vccnz .LBB19_26
	s_branch .LBB19_30
.LBB19_25:
	s_mov_b32 s9, 0
	s_cbranch_execz .LBB19_30
.LBB19_26:
	s_lshl_b32 s6, s9, 2
	v_mov_b32_e32 v1, 0
	s_sub_i32 s8, s10, s9
	v_add_u32_e32 v1, s6, v1
	s_mov_b32 s9, 0xbfb8aa3b
	s_mov_b32 s11, 0x42ce8ed0
	;; [unrolled: 1-line block ×3, first 2 shown]
	v_mov_b32_e32 v3, 0x7f800000
	s_branch .LBB19_28
.LBB19_27:                              ;   in Loop: Header=BB19_28 Depth=1
	s_or_b64 exec, exec, s[6:7]
	s_add_i32 s8, s8, -1
	buffer_store_dword v5, v1, s[0:3], 0 offen
	s_cmp_lg_u32 s8, 0
	v_add_u32_e32 v1, 4, v1
	s_cbranch_scc0 .LBB19_30
.LBB19_28:                              ; =>This Inner Loop Header: Depth=1
	buffer_load_dword v4, v1, s[0:3], 0 offen
	v_mov_b32_e32 v5, 0
	s_waitcnt vmcnt(0)
	v_cmp_o_f32_e32 vcc, v4, v4
	s_and_saveexec_b64 s[6:7], vcc
	s_cbranch_execz .LBB19_27
; %bb.29:                               ;   in Loop: Header=BB19_28 Depth=1
	v_mul_f32_e32 v5, 0xbfb8aa3b, v4
	v_rndne_f32_e32 v8, v5
	v_sub_f32_e32 v9, v5, v8
	v_fma_f32 v5, v4, s9, -v5
	v_fmac_f32_e32 v5, 0xb2a5705f, v4
	v_add_f32_e32 v5, v9, v5
	v_cvt_i32_f32_e32 v8, v8
	v_exp_f32_e32 v5, v5
	v_cmp_nlt_f32_e32 vcc, s11, v4
	v_ldexp_f32 v5, v5, v8
	v_cndmask_b32_e32 v5, 0, v5, vcc
	v_cmp_ngt_f32_e32 vcc, s12, v4
	v_cndmask_b32_e32 v4, v3, v5, vcc
	v_add_f32_e32 v4, 1.0, v4
	v_div_scale_f32 v5, s[14:15], v4, v4, 1.0
	v_rcp_f32_e32 v8, v5
	v_fma_f32 v9, -v5, v8, 1.0
	v_fmac_f32_e32 v8, v9, v8
	v_div_scale_f32 v9, vcc, 1.0, v4, 1.0
	v_mul_f32_e32 v10, v9, v8
	v_fma_f32 v11, -v5, v10, v9
	v_fmac_f32_e32 v10, v11, v8
	v_fma_f32 v5, -v5, v10, v9
	v_div_fmas_f32 v5, v5, v8, v10
	v_div_fixup_f32 v5, v5, v4, 1.0
	s_branch .LBB19_27
.LBB19_30:
	s_and_b64 vcc, exec, s[28:29]
	s_cbranch_vccz .LBB19_38
; %bb.31:
	s_add_i32 s7, s10, -2
	s_lshr_b32 s6, s7, 1
	s_add_i32 s6, s6, 1
	s_cmp_lt_u32 s7, 14
	s_mov_b32 s7, 0
	s_cbranch_scc1 .LBB19_34
; %bb.32:
	s_and_b32 s8, s6, -8
	v_mov_b32_e32 v1, 0
	v_mov_b32_e32 v3, 0x80
.LBB19_33:                              ; =>This Inner Loop Header: Depth=1
	buffer_load_dword v4, v1, s[0:3], 0 offen
	buffer_load_dword v5, v1, s[0:3], 0 offen offset:4
	buffer_load_dword v8, v1, s[0:3], 0 offen offset:8
	;; [unrolled: 1-line block ×7, first 2 shown]
	buffer_load_dword v16, v3, s[0:3], 0 offen
	buffer_load_dword v17, v3, s[0:3], 0 offen offset:4
	buffer_load_dword v18, v3, s[0:3], 0 offen offset:8
	;; [unrolled: 1-line block ×23, first 2 shown]
	s_add_i32 s7, s7, 16
	s_add_i32 s8, s8, -8
	v_add_u32_e32 v1, 64, v1
	s_cmp_lg_u32 s8, 0
	s_waitcnt vmcnt(22)
	v_pk_add_f32 v[4:5], v[4:5], v[16:17]
	s_waitcnt vmcnt(20)
	v_pk_add_f32 v[8:9], v[8:9], v[18:19]
	;; [unrolled: 2-line block ×8, first 2 shown]
	buffer_store_dword v4, v3, s[0:3], 0 offen
	buffer_store_dword v5, v3, s[0:3], 0 offen offset:4
	buffer_store_dword v8, v3, s[0:3], 0 offen offset:8
	;; [unrolled: 1-line block ×15, first 2 shown]
	v_add_u32_e32 v3, 64, v3
	s_cbranch_scc1 .LBB19_33
.LBB19_34:
	s_and_b32 s6, s6, 7
	s_cmp_eq_u32 s6, 0
	s_cbranch_scc1 .LBB19_37
; %bb.35:
	s_lshl_b32 s7, s7, 2
	v_mov_b32_e32 v1, 0x80
	v_mov_b32_e32 v3, 0
	v_add_u32_e32 v1, s7, v1
	v_add_u32_e32 v3, s7, v3
.LBB19_36:                              ; =>This Inner Loop Header: Depth=1
	buffer_load_dword v4, v3, s[0:3], 0 offen
	buffer_load_dword v5, v3, s[0:3], 0 offen offset:4
	buffer_load_dword v8, v1, s[0:3], 0 offen
	buffer_load_dword v9, v1, s[0:3], 0 offen offset:4
	s_add_i32 s6, s6, -1
	s_cmp_lg_u32 s6, 0
	v_add_u32_e32 v3, 8, v3
	s_waitcnt vmcnt(0)
	v_pk_add_f32 v[4:5], v[4:5], v[8:9]
	buffer_store_dword v4, v1, s[0:3], 0 offen
	buffer_store_dword v5, v1, s[0:3], 0 offen offset:4
	v_add_u32_e32 v1, 8, v1
	s_cbranch_scc1 .LBB19_36
.LBB19_37:
	s_and_b32 s8, s10, 0x7ffffffe
	s_cmp_lg_u32 s8, s10
	s_cselect_b64 s[6:7], -1, 0
	s_and_b64 vcc, exec, s[6:7]
	s_cbranch_vccnz .LBB19_39
	s_branch .LBB19_41
.LBB19_38:
	s_mov_b32 s8, 0
	s_cbranch_execz .LBB19_41
.LBB19_39:
	s_lshl_b32 s7, s8, 2
	v_mov_b32_e32 v1, 0x80
	v_mov_b32_e32 v3, 0
	s_sub_i32 s6, s10, s8
	v_add_u32_e32 v1, s7, v1
	v_add_u32_e32 v3, s7, v3
.LBB19_40:                              ; =>This Inner Loop Header: Depth=1
	buffer_load_dword v4, v3, s[0:3], 0 offen
	buffer_load_dword v5, v1, s[0:3], 0 offen
	s_add_i32 s6, s6, -1
	s_cmp_eq_u32 s6, 0
	v_add_u32_e32 v3, 4, v3
	s_waitcnt vmcnt(0)
	v_add_f32_e32 v4, v4, v5
	buffer_store_dword v4, v1, s[0:3], 0 offen
	v_add_u32_e32 v1, 4, v1
	s_cbranch_scc0 .LBB19_40
.LBB19_41:
	s_add_i32 s6, s10, -1
	s_cmp_lt_u32 s6, 7
	v_mov_b32_e32 v5, 0xff7fffff
	s_cbranch_scc1 .LBB19_76
; %bb.42:
	s_and_b32 s11, s10, 0x7ffffff8
	v_mov_b32_e32 v1, 0x80
	s_mov_b32 s12, 0
	v_mov_b32_e32 v4, 0xff7fffff
	v_mov_b32_e32 v5, 0xff7fffff
	s_branch .LBB19_45
.LBB19_43:                              ;   in Loop: Header=BB19_45 Depth=1
	s_or_b64 exec, exec, s[8:9]
	v_mov_b32_e32 v5, v8
	v_mov_b32_e32 v4, v3
.LBB19_44:                              ;   in Loop: Header=BB19_45 Depth=1
	s_or_b64 exec, exec, s[6:7]
	s_add_i32 s12, s12, 8
	s_cmp_eq_u32 s11, s12
	v_add_u32_e32 v1, 32, v1
	s_cbranch_scc1 .LBB19_77
.LBB19_45:                              ; =>This Inner Loop Header: Depth=1
	buffer_load_dword v3, v1, s[0:3], 0 offen
	v_mov_b32_e32 v8, v4
	s_waitcnt vmcnt(0)
	v_cmp_ngt_f32_e32 vcc, v3, v4
	s_and_saveexec_b64 s[6:7], vcc
	s_cbranch_execz .LBB19_49
; %bb.46:                               ;   in Loop: Header=BB19_45 Depth=1
	v_cmp_gt_f32_e32 vcc, v3, v5
	s_and_saveexec_b64 s[8:9], vcc
; %bb.47:                               ;   in Loop: Header=BB19_45 Depth=1
	v_mov_b32_e32 v5, v3
; %bb.48:                               ;   in Loop: Header=BB19_45 Depth=1
	s_or_b64 exec, exec, s[8:9]
	v_mov_b32_e32 v8, v5
	v_mov_b32_e32 v3, v4
.LBB19_49:                              ;   in Loop: Header=BB19_45 Depth=1
	s_or_b64 exec, exec, s[6:7]
	buffer_load_dword v4, v1, s[0:3], 0 offen offset:4
	v_mov_b32_e32 v5, v3
	s_waitcnt vmcnt(0)
	v_cmp_ngt_f32_e32 vcc, v4, v3
	s_and_saveexec_b64 s[6:7], vcc
	s_cbranch_execz .LBB19_53
; %bb.50:                               ;   in Loop: Header=BB19_45 Depth=1
	v_cmp_gt_f32_e32 vcc, v4, v8
	s_and_saveexec_b64 s[8:9], vcc
; %bb.51:                               ;   in Loop: Header=BB19_45 Depth=1
	v_mov_b32_e32 v8, v4
; %bb.52:                               ;   in Loop: Header=BB19_45 Depth=1
	s_or_b64 exec, exec, s[8:9]
	v_mov_b32_e32 v5, v8
	v_mov_b32_e32 v4, v3
.LBB19_53:                              ;   in Loop: Header=BB19_45 Depth=1
	s_or_b64 exec, exec, s[6:7]
	buffer_load_dword v3, v1, s[0:3], 0 offen offset:8
	;; [unrolled: 17-line block ×7, first 2 shown]
	v_mov_b32_e32 v5, v3
	s_waitcnt vmcnt(0)
	v_cmp_ngt_f32_e32 vcc, v4, v3
	s_and_saveexec_b64 s[6:7], vcc
	s_cbranch_execz .LBB19_44
; %bb.74:                               ;   in Loop: Header=BB19_45 Depth=1
	v_cmp_gt_f32_e32 vcc, v4, v8
	s_and_saveexec_b64 s[8:9], vcc
	s_cbranch_execz .LBB19_43
; %bb.75:                               ;   in Loop: Header=BB19_45 Depth=1
	v_mov_b32_e32 v8, v4
	s_branch .LBB19_43
.LBB19_76:
	s_mov_b32 s11, 0
	v_mov_b32_e32 v4, 0xff7fffff
.LBB19_77:
	s_and_b32 s12, s10, 7
	s_cmp_eq_u32 s12, 0
	s_cbranch_scc1 .LBB19_84
; %bb.78:
	s_lshl_b32 s6, s11, 2
	v_mov_b32_e32 v1, 0x80
	v_add_u32_e32 v1, s6, v1
	s_branch .LBB19_81
.LBB19_79:                              ;   in Loop: Header=BB19_81 Depth=1
	s_or_b64 exec, exec, s[8:9]
	v_mov_b32_e32 v8, v5
	v_mov_b32_e32 v3, v4
.LBB19_80:                              ;   in Loop: Header=BB19_81 Depth=1
	s_or_b64 exec, exec, s[6:7]
	s_add_i32 s12, s12, -1
	s_cmp_lg_u32 s12, 0
	v_add_u32_e32 v1, 4, v1
	v_mov_b32_e32 v4, v3
	v_mov_b32_e32 v5, v8
	s_cbranch_scc0 .LBB19_84
.LBB19_81:                              ; =>This Inner Loop Header: Depth=1
	buffer_load_dword v3, v1, s[0:3], 0 offen
	v_mov_b32_e32 v8, v4
	s_waitcnt vmcnt(0)
	v_cmp_ngt_f32_e32 vcc, v3, v4
	s_and_saveexec_b64 s[6:7], vcc
	s_cbranch_execz .LBB19_80
; %bb.82:                               ;   in Loop: Header=BB19_81 Depth=1
	v_cmp_gt_f32_e32 vcc, v3, v5
	s_and_saveexec_b64 s[8:9], vcc
	s_cbranch_execz .LBB19_79
; %bb.83:                               ;   in Loop: Header=BB19_81 Depth=1
	v_mov_b32_e32 v5, v3
	s_branch .LBB19_79
.LBB19_84:
	buffer_load_dword v1, off, s[0:3], 0 offset:128
.LBB19_85:
	s_bfe_i64 s[6:7], s[24:25], 0x200000
	s_sub_u32 s12, s6, s26
	s_subb_u32 s13, s7, s27
	v_cmp_lt_i64_e64 s[6:7], s[12:13], 1
	s_and_b64 vcc, exec, s[6:7]
	v_mbcnt_lo_u32_b32 v3, -1, 0
	s_cbranch_vccnz .LBB19_123
; %bb.86:
	s_abs_i32 s11, s10
	v_cvt_f32_u32_e32 v8, s11
	v_add_f32_e32 v4, v5, v4
	v_bfrev_b32_e32 v9, 0.5
	s_sub_i32 s6, 0, s11
	v_rcp_iflag_f32_e32 v5, v8
	v_mbcnt_hi_u32_b32 v8, -1, v3
	v_mov_b32_e32 v10, 0x7c
	s_ashr_i32 s23, s10, 31
	v_mul_f32_e32 v5, 0x4f7ffffe, v5
	v_cvt_u32_f32_e32 v11, v5
	v_lshl_or_b32 v5, v8, 2, v9
	s_mov_b64 s[14:15], 0
	v_lshl_or_b32 v8, v8, 2, v10
	v_mul_lo_u32 v9, s6, v11
	v_mul_hi_u32 v9, v11, v9
	v_add_u32_e32 v9, v11, v9
	v_mov_b32_e32 v10, 0x7f7fffff
	s_branch .LBB19_89
.LBB19_87:                              ;   in Loop: Header=BB19_89 Depth=1
	s_or_b64 exec, exec, s[6:7]
.LBB19_88:                              ;   in Loop: Header=BB19_89 Depth=1
	s_waitcnt lgkmcnt(0)
	v_sub_u32_e32 v14, 0, v11
	v_ashrrev_i32_e32 v13, 31, v11
	v_max_i32_e32 v11, v11, v14
	v_mul_hi_u32 v14, v11, v9
	v_mul_lo_u32 v15, v14, s11
	v_sub_u32_e32 v11, v11, v15
	v_add_u32_e32 v15, 1, v14
	v_cmp_le_u32_e32 vcc, s11, v11
	v_cndmask_b32_e32 v14, v14, v15, vcc
	v_subrev_u32_e32 v15, s11, v11
	v_cndmask_b32_e32 v11, v11, v15, vcc
	v_add_u32_e32 v15, 1, v14
	v_cmp_le_u32_e32 vcc, s11, v11
	v_xor_b32_e32 v13, s23, v13
	v_cndmask_b32_e32 v11, v14, v15, vcc
	v_xor_b32_e32 v11, v11, v13
	s_add_u32 s14, s14, 1
	v_sub_u32_e32 v11, v11, v13
	s_addc_u32 s15, s15, 0
	v_cmp_eq_u32_e32 vcc, v12, v11
	v_pk_mov_b32 v[14:15], s[14:15], s[14:15] op_sel:[0,1]
	s_waitcnt vmcnt(0)
	v_cndmask_b32_e32 v1, v1, v10, vcc
	v_cndmask_b32_e32 v4, v4, v10, vcc
	v_cmp_le_u64_e32 vcc, s[12:13], v[14:15]
	s_cbranch_vccnz .LBB19_123
.LBB19_89:                              ; =>This Inner Loop Header: Depth=1
	s_cmp_lt_i32 s24, 16
	s_cbranch_scc1 .LBB19_95
; %bb.90:                               ;   in Loop: Header=BB19_89 Depth=1
	s_cmp_lt_i32 s24, 32
	s_cbranch_scc1 .LBB19_96
; %bb.91:                               ;   in Loop: Header=BB19_89 Depth=1
	;; [unrolled: 3-line block ×3, first 2 shown]
	s_cmp_eq_u32 s24, 64
	v_mov_b32_e32 v11, v0
	s_cbranch_scc0 .LBB19_94
; %bb.93:                               ;   in Loop: Header=BB19_89 Depth=1
	s_nop 0
	v_mov_b32_dpp v11, v0 quad_perm:[1,0,3,2] row_mask:0xf bank_mask:0xf
	v_mov_b32_dpp v13, v4 quad_perm:[1,0,3,2] row_mask:0xf bank_mask:0xf
	v_cmp_eq_f32_e64 s[6:7], v4, v13
	v_cmp_lt_i32_e64 s[8:9], v0, v11
	v_cmp_lt_f32_e32 vcc, v4, v13
	s_and_b64 s[6:7], s[6:7], s[8:9]
	s_or_b64 vcc, vcc, s[6:7]
	v_cndmask_b32_e32 v13, v13, v4, vcc
	v_cndmask_b32_e32 v11, v11, v0, vcc
	s_nop 0
	v_mov_b32_dpp v15, v13 quad_perm:[2,3,0,1] row_mask:0xf bank_mask:0xf
	v_mov_b32_dpp v14, v11 quad_perm:[2,3,0,1] row_mask:0xf bank_mask:0xf
	v_cmp_eq_f32_e32 vcc, v13, v15
	v_cmp_lt_i32_e64 s[6:7], v11, v14
	s_and_b64 vcc, vcc, s[6:7]
	v_cmp_lt_f32_e64 s[6:7], v13, v15
	v_cndmask_b32_e32 v16, v15, v13, vcc
	s_or_b64 vcc, s[6:7], vcc
	v_cndmask_b32_e64 v13, v16, v13, s[6:7]
	v_cndmask_b32_e32 v11, v14, v11, vcc
	s_nop 0
	v_mov_b32_dpp v15, v13 row_ror:4 row_mask:0xf bank_mask:0xf
	v_mov_b32_dpp v14, v11 row_ror:4 row_mask:0xf bank_mask:0xf
	v_cmp_eq_f32_e32 vcc, v13, v15
	v_cmp_lt_i32_e64 s[6:7], v11, v14
	s_and_b64 vcc, vcc, s[6:7]
	v_cmp_lt_f32_e64 s[6:7], v13, v15
	v_cndmask_b32_e32 v16, v15, v13, vcc
	s_or_b64 vcc, s[6:7], vcc
	v_cndmask_b32_e64 v13, v16, v13, s[6:7]
	v_cndmask_b32_e32 v11, v14, v11, vcc
	s_nop 0
	v_mov_b32_dpp v15, v13 row_ror:8 row_mask:0xf bank_mask:0xf
	v_mov_b32_dpp v14, v11 row_ror:8 row_mask:0xf bank_mask:0xf
	v_cmp_eq_f32_e32 vcc, v13, v15
	v_cmp_lt_i32_e64 s[6:7], v11, v14
	s_and_b64 vcc, vcc, s[6:7]
	v_cmp_lt_f32_e64 s[6:7], v13, v15
	v_cndmask_b32_e32 v16, v15, v13, vcc
	s_or_b64 vcc, s[6:7], vcc
	v_cndmask_b32_e64 v13, v16, v13, s[6:7]
	v_cndmask_b32_e32 v11, v14, v11, vcc
	s_nop 0
	v_mov_b32_dpp v15, v13 row_bcast:15 row_mask:0xf bank_mask:0xf
	v_mov_b32_dpp v14, v11 row_bcast:15 row_mask:0xf bank_mask:0xf
	v_cmp_eq_f32_e32 vcc, v13, v15
	v_cmp_lt_i32_e64 s[6:7], v11, v14
	s_and_b64 vcc, vcc, s[6:7]
	v_cmp_lt_f32_e64 s[6:7], v13, v15
	v_cndmask_b32_e32 v16, v15, v13, vcc
	s_or_b64 vcc, s[6:7], vcc
	v_cndmask_b32_e64 v13, v16, v13, s[6:7]
	v_cndmask_b32_e32 v11, v14, v11, vcc
	s_nop 0
	v_mov_b32_dpp v15, v13 row_bcast:31 row_mask:0xf bank_mask:0xf
	v_mov_b32_dpp v14, v11 row_bcast:31 row_mask:0xf bank_mask:0xf
	v_min_i32_e32 v16, v11, v14
	v_cmp_eq_f32_e32 vcc, v13, v15
	v_cndmask_b32_e32 v14, v14, v16, vcc
	v_cmp_lt_f32_e32 vcc, v13, v15
	v_cndmask_b32_e32 v11, v14, v11, vcc
	ds_bpermute_b32 v11, v5, v11
.LBB19_94:                              ;   in Loop: Header=BB19_89 Depth=1
	s_cbranch_execz .LBB19_98
	s_branch .LBB19_100
.LBB19_95:                              ;   in Loop: Header=BB19_89 Depth=1
                                        ; implicit-def: $vgpr11
	s_branch .LBB19_106
.LBB19_96:                              ;   in Loop: Header=BB19_89 Depth=1
                                        ; implicit-def: $vgpr11
	s_branch .LBB19_101
.LBB19_97:                              ;   in Loop: Header=BB19_89 Depth=1
                                        ; implicit-def: $vgpr11
.LBB19_98:                              ;   in Loop: Header=BB19_89 Depth=1
	s_cmp_eq_u32 s24, 32
	s_waitcnt lgkmcnt(0)
	v_mov_b32_e32 v11, v0
	s_cbranch_scc0 .LBB19_100
; %bb.99:                               ;   in Loop: Header=BB19_89 Depth=1
	s_nop 0
	v_mov_b32_dpp v11, v0 quad_perm:[1,0,3,2] row_mask:0xf bank_mask:0xf
	v_mov_b32_dpp v13, v4 quad_perm:[1,0,3,2] row_mask:0xf bank_mask:0xf
	v_cmp_eq_f32_e64 s[6:7], v4, v13
	v_cmp_lt_i32_e64 s[8:9], v0, v11
	v_cmp_lt_f32_e32 vcc, v4, v13
	s_and_b64 s[6:7], s[6:7], s[8:9]
	s_or_b64 vcc, vcc, s[6:7]
	v_cndmask_b32_e32 v13, v13, v4, vcc
	v_cndmask_b32_e32 v11, v11, v0, vcc
	s_nop 0
	v_mov_b32_dpp v15, v13 quad_perm:[2,3,0,1] row_mask:0xf bank_mask:0xf
	v_mov_b32_dpp v14, v11 quad_perm:[2,3,0,1] row_mask:0xf bank_mask:0xf
	v_cmp_eq_f32_e32 vcc, v13, v15
	v_cmp_lt_i32_e64 s[6:7], v11, v14
	s_and_b64 vcc, vcc, s[6:7]
	v_cmp_lt_f32_e64 s[6:7], v13, v15
	v_cndmask_b32_e32 v16, v15, v13, vcc
	s_or_b64 vcc, s[6:7], vcc
	v_cndmask_b32_e64 v13, v16, v13, s[6:7]
	v_cndmask_b32_e32 v11, v14, v11, vcc
	s_nop 0
	v_mov_b32_dpp v15, v13 row_half_mirror row_mask:0xf bank_mask:0xf
	v_mov_b32_dpp v14, v11 row_half_mirror row_mask:0xf bank_mask:0xf
	v_cmp_eq_f32_e32 vcc, v13, v15
	v_cmp_lt_i32_e64 s[6:7], v11, v14
	s_and_b64 vcc, vcc, s[6:7]
	v_cmp_lt_f32_e64 s[6:7], v13, v15
	v_cndmask_b32_e32 v16, v15, v13, vcc
	s_or_b64 vcc, s[6:7], vcc
	v_cndmask_b32_e64 v13, v16, v13, s[6:7]
	v_cndmask_b32_e32 v11, v14, v11, vcc
	s_nop 0
	v_mov_b32_dpp v15, v13 row_mirror row_mask:0xf bank_mask:0xf
	v_mov_b32_dpp v14, v11 row_mirror row_mask:0xf bank_mask:0xf
	v_cmp_eq_f32_e32 vcc, v13, v15
	v_cmp_lt_i32_e64 s[6:7], v11, v14
	s_and_b64 vcc, vcc, s[6:7]
	v_cmp_lt_f32_e64 s[6:7], v13, v15
	v_cndmask_b32_e32 v16, v15, v13, vcc
	s_or_b64 vcc, s[6:7], vcc
	v_cndmask_b32_e64 v13, v16, v13, s[6:7]
	v_cndmask_b32_e32 v11, v14, v11, vcc
	s_nop 0
	v_mov_b32_dpp v15, v13 row_bcast:15 row_mask:0xa bank_mask:0xf
	v_mov_b32_dpp v14, v11 row_bcast:15 row_mask:0xa bank_mask:0xf
	v_min_i32_e32 v16, v11, v14
	v_cmp_eq_f32_e32 vcc, v13, v15
	v_cndmask_b32_e32 v14, v14, v16, vcc
	v_cmp_lt_f32_e32 vcc, v13, v15
	v_cndmask_b32_e32 v11, v14, v11, vcc
	ds_bpermute_b32 v11, v8, v11
.LBB19_100:                             ;   in Loop: Header=BB19_89 Depth=1
	s_cbranch_execnz .LBB19_105
.LBB19_101:                             ;   in Loop: Header=BB19_89 Depth=1
	s_cmp_eq_u32 s24, 16
	s_waitcnt lgkmcnt(0)
	v_mov_b32_e32 v11, v0
	s_cbranch_scc0 .LBB19_105
; %bb.102:                              ;   in Loop: Header=BB19_89 Depth=1
	s_nop 0
	v_mov_b32_dpp v11, v0 quad_perm:[1,0,3,2] row_mask:0xf bank_mask:0xf
	v_mov_b32_dpp v13, v4 quad_perm:[1,0,3,2] row_mask:0xf bank_mask:0xf
	v_cmp_eq_f32_e64 s[6:7], v4, v13
	v_cmp_lt_i32_e64 s[8:9], v0, v11
	v_cmp_lt_f32_e32 vcc, v4, v13
	s_and_b64 s[6:7], s[6:7], s[8:9]
	s_or_b64 vcc, vcc, s[6:7]
	v_cndmask_b32_e32 v13, v13, v4, vcc
	v_cndmask_b32_e32 v11, v11, v0, vcc
	s_nop 0
	v_mov_b32_dpp v15, v13 quad_perm:[2,3,0,1] row_mask:0xf bank_mask:0xf
	v_mov_b32_dpp v14, v11 quad_perm:[2,3,0,1] row_mask:0xf bank_mask:0xf
	v_cmp_eq_f32_e32 vcc, v13, v15
	v_cmp_lt_i32_e64 s[6:7], v11, v14
	s_and_b64 vcc, vcc, s[6:7]
	v_cmp_lt_f32_e64 s[6:7], v13, v15
	v_cndmask_b32_e32 v16, v15, v13, vcc
	s_or_b64 vcc, s[6:7], vcc
	v_cndmask_b32_e64 v13, v16, v13, s[6:7]
	v_cndmask_b32_e32 v11, v14, v11, vcc
	s_nop 0
	v_mov_b32_dpp v15, v13 row_half_mirror row_mask:0xf bank_mask:0xf
	v_mov_b32_dpp v14, v11 row_half_mirror row_mask:0xf bank_mask:0xf
	v_cmp_eq_f32_e32 vcc, v13, v15
	v_cmp_lt_i32_e64 s[6:7], v11, v14
	s_and_b64 vcc, vcc, s[6:7]
	v_cndmask_b32_e32 v16, v15, v13, vcc
	v_cmp_lt_f32_e64 s[6:7], v13, v15
	v_cndmask_b32_e64 v13, v16, v13, s[6:7]
	s_or_b64 vcc, s[6:7], vcc
	v_cndmask_b32_e32 v11, v14, v11, vcc
	v_mov_b32_dpp v15, v13 row_mirror row_mask:0xf bank_mask:0xf
	v_cmp_nlt_f32_e32 vcc, v13, v15
	v_mov_b32_dpp v14, v11 row_mirror row_mask:0xf bank_mask:0xf
	s_and_saveexec_b64 s[6:7], vcc
; %bb.103:                              ;   in Loop: Header=BB19_89 Depth=1
	v_min_i32_e32 v11, v11, v14
	v_cmp_eq_f32_e32 vcc, v13, v15
	v_cndmask_b32_e32 v11, v14, v11, vcc
; %bb.104:                              ;   in Loop: Header=BB19_89 Depth=1
	s_or_b64 exec, exec, s[6:7]
.LBB19_105:                             ;   in Loop: Header=BB19_89 Depth=1
	s_cbranch_execnz .LBB19_88
.LBB19_106:                             ;   in Loop: Header=BB19_89 Depth=1
	s_cmp_lt_i32 s24, 4
	s_cbranch_scc1 .LBB19_113
; %bb.107:                              ;   in Loop: Header=BB19_89 Depth=1
	s_cmp_lt_i32 s24, 8
	s_cbranch_scc1 .LBB19_114
; %bb.108:                              ;   in Loop: Header=BB19_89 Depth=1
	s_cmp_eq_u32 s24, 8
	s_waitcnt lgkmcnt(0)
	v_mov_b32_e32 v11, v0
	s_cbranch_scc0 .LBB19_112
; %bb.109:                              ;   in Loop: Header=BB19_89 Depth=1
	s_nop 0
	v_mov_b32_dpp v11, v0 quad_perm:[1,0,3,2] row_mask:0xf bank_mask:0xf
	v_mov_b32_dpp v13, v4 quad_perm:[1,0,3,2] row_mask:0xf bank_mask:0xf
	v_cmp_eq_f32_e64 s[6:7], v4, v13
	v_cmp_lt_i32_e64 s[8:9], v0, v11
	v_cmp_lt_f32_e32 vcc, v4, v13
	s_and_b64 s[6:7], s[6:7], s[8:9]
	s_or_b64 vcc, vcc, s[6:7]
	v_cndmask_b32_e32 v13, v13, v4, vcc
	v_cndmask_b32_e32 v11, v11, v0, vcc
	s_nop 0
	v_mov_b32_dpp v15, v13 quad_perm:[2,3,0,1] row_mask:0xf bank_mask:0xf
	v_mov_b32_dpp v14, v11 quad_perm:[2,3,0,1] row_mask:0xf bank_mask:0xf
	v_cmp_eq_f32_e32 vcc, v13, v15
	v_cmp_lt_i32_e64 s[6:7], v11, v14
	s_and_b64 vcc, vcc, s[6:7]
	v_cndmask_b32_e32 v16, v15, v13, vcc
	v_cmp_lt_f32_e64 s[6:7], v13, v15
	v_cndmask_b32_e64 v13, v16, v13, s[6:7]
	s_or_b64 vcc, s[6:7], vcc
	v_cndmask_b32_e32 v11, v14, v11, vcc
	v_mov_b32_dpp v15, v13 row_half_mirror row_mask:0xf bank_mask:0xf
	v_cmp_nlt_f32_e32 vcc, v13, v15
	v_mov_b32_dpp v14, v11 row_half_mirror row_mask:0xf bank_mask:0xf
	s_and_saveexec_b64 s[6:7], vcc
; %bb.110:                              ;   in Loop: Header=BB19_89 Depth=1
	v_min_i32_e32 v11, v11, v14
	v_cmp_eq_f32_e32 vcc, v13, v15
	v_cndmask_b32_e32 v11, v14, v11, vcc
; %bb.111:                              ;   in Loop: Header=BB19_89 Depth=1
	s_or_b64 exec, exec, s[6:7]
.LBB19_112:                             ;   in Loop: Header=BB19_89 Depth=1
	s_cbranch_execz .LBB19_115
	s_branch .LBB19_119
.LBB19_113:                             ;   in Loop: Header=BB19_89 Depth=1
                                        ; implicit-def: $vgpr11
	s_branch .LBB19_120
.LBB19_114:                             ;   in Loop: Header=BB19_89 Depth=1
                                        ; implicit-def: $vgpr11
.LBB19_115:                             ;   in Loop: Header=BB19_89 Depth=1
	s_cmp_eq_u32 s24, 4
	s_waitcnt lgkmcnt(0)
	v_mov_b32_e32 v11, v0
	s_cbranch_scc0 .LBB19_119
; %bb.116:                              ;   in Loop: Header=BB19_89 Depth=1
	s_nop 0
	v_mov_b32_dpp v11, v0 quad_perm:[1,0,3,2] row_mask:0xf bank_mask:0xf
	v_mov_b32_dpp v13, v4 quad_perm:[1,0,3,2] row_mask:0xf bank_mask:0xf
	v_cmp_eq_f32_e64 s[6:7], v4, v13
	v_cmp_lt_i32_e64 s[8:9], v0, v11
	v_cmp_lt_f32_e32 vcc, v4, v13
	s_and_b64 s[6:7], s[6:7], s[8:9]
	s_or_b64 vcc, vcc, s[6:7]
	v_cndmask_b32_e32 v13, v13, v4, vcc
	v_cndmask_b32_e32 v11, v11, v0, vcc
	s_nop 0
	v_mov_b32_dpp v15, v13 quad_perm:[2,3,0,1] row_mask:0xf bank_mask:0xf
	v_mov_b32_dpp v14, v11 quad_perm:[2,3,0,1] row_mask:0xf bank_mask:0xf
	v_cmp_nlt_f32_e32 vcc, v13, v15
	s_and_saveexec_b64 s[6:7], vcc
; %bb.117:                              ;   in Loop: Header=BB19_89 Depth=1
	v_min_i32_e32 v11, v11, v14
	v_cmp_eq_f32_e32 vcc, v13, v15
	v_cndmask_b32_e32 v11, v14, v11, vcc
; %bb.118:                              ;   in Loop: Header=BB19_89 Depth=1
	s_or_b64 exec, exec, s[6:7]
.LBB19_119:                             ;   in Loop: Header=BB19_89 Depth=1
	s_cbranch_execnz .LBB19_88
.LBB19_120:                             ;   in Loop: Header=BB19_89 Depth=1
	s_cmp_lg_u32 s24, 2
	s_waitcnt lgkmcnt(0)
	v_mov_b32_e32 v11, v0
	s_cbranch_scc1 .LBB19_88
; %bb.121:                              ;   in Loop: Header=BB19_89 Depth=1
	v_mov_b32_dpp v14, v4 quad_perm:[1,0,3,2] row_mask:0xf bank_mask:0xf
	v_mov_b32_dpp v13, v0 quad_perm:[1,0,3,2] row_mask:0xf bank_mask:0xf
	v_cmp_nlt_f32_e32 vcc, v4, v14
	v_mov_b32_e32 v11, v0
	s_and_saveexec_b64 s[6:7], vcc
	s_cbranch_execz .LBB19_87
; %bb.122:                              ;   in Loop: Header=BB19_89 Depth=1
	v_min_i32_e32 v11, v0, v13
	v_cmp_eq_f32_e32 vcc, v4, v14
	v_cndmask_b32_e32 v11, v13, v11, vcc
	s_branch .LBB19_87
.LBB19_123:
	s_load_dwordx4 s[12:15], s[4:5], 0x40
	s_load_dwordx2 s[26:27], s[4:5], 0x50
	s_load_dword s23, s[4:5], 0x58
	s_mov_b64 s[4:5], src_shared_base
	s_cmp_lg_u32 0, -1
	s_cselect_b32 s4, s5, 0
	s_cselect_b32 s5, 0, 0
	s_add_u32 s5, s5, 0xff
	s_addc_u32 s4, s4, 0
	s_and_b32 s5, s5, 0xffffff00
	v_mov_b32_e32 v4, s5
	v_mov_b32_e32 v5, s4
	s_waitcnt lgkmcnt(0)
	s_lshl_b32 s6, s12, 2
	v_mad_u64_u32 v[8:9], s[4:5], s6, v2, v[4:5]
	v_mov_b32_e32 v5, s12
	s_sub_u32 s28, s12, s14
	v_ashrrev_i32_e32 v10, 31, v2
	v_alignbit_b32 v5, s13, v5, 30
	s_subb_u32 s29, s13, s15
	v_mul_lo_u32 v4, s6, v10
	v_mul_lo_u32 v2, v5, v2
	v_cmp_lt_i64_e64 s[4:5], s[28:29], 1
	v_add3_u32 v9, v2, v9, v4
	s_and_b64 vcc, exec, s[4:5]
	v_cmp_eq_u32_e64 s[4:5], 0, v12
	s_waitcnt vmcnt(0)
	buffer_store_dword v1, off, s[0:3], 0 offset:128
	s_cbranch_vccnz .LBB19_200
; %bb.124:
	s_cmp_lt_i32 s10, 2
	s_cselect_b64 s[30:31], -1, 0
	v_mad_u64_u32 v[4:5], s[6:7], v6, s23, 0
	s_add_i32 s9, s10, -1
	s_ashr_i32 s8, s23, 31
	s_add_i32 s6, s10, -2
	s_and_b32 s25, s9, 7
	s_cmp_gt_u32 s6, 6
	s_cselect_b64 s[6:7], -1, 0
	s_and_b32 s33, s9, -8
	s_cmp_lg_u32 s25, 0
	s_cselect_b64 s[34:35], -1, 0
	s_and_b32 s42, s10, 7
	s_cmp_gt_u32 s9, 6
	s_cselect_b64 s[36:37], -1, 0
	s_and_b32 s43, s10, 0x7ffffff8
	s_cmp_lg_u32 s42, 0
	s_cselect_b64 s[38:39], -1, 0
	s_abs_i32 s44, s10
	v_cvt_f32_u32_e32 v1, s44
	v_mov_b32_e32 v2, v5
	v_mad_u64_u32 v[10:11], s[8:9], v6, s8, v[2:3]
	v_rcp_iflag_f32_e32 v1, v1
	v_mov_b32_e32 v5, v10
	v_lshlrev_b64 v[4:5], 2, v[4:5]
	v_mov_b32_e32 v2, s19
	v_mul_f32_e32 v1, 0x4f7ffffe, v1
	v_cvt_u32_f32_e32 v10, v1
	v_add_co_u32_e32 v1, vcc, s18, v4
	s_sub_i32 s8, 0, s44
	v_addc_co_u32_e32 v4, vcc, v2, v5, vcc
	v_mul_lo_u32 v2, s8, v10
	v_mul_hi_u32 v2, v10, v2
	v_add_u32_e32 v5, v10, v2
	v_cndmask_b32_e64 v2, 0, 1, s[6:7]
	v_mov_b32_e32 v10, 0x80
	v_cmp_ne_u32_e64 s[6:7], 1, v2
	v_mbcnt_hi_u32_b32 v14, -1, v3
	v_bfrev_b32_e32 v2, 0.5
	s_ashr_i32 s45, s10, 31
	v_mov_b32_e32 v18, 0
	v_or_b32_e32 v11, 4, v10
	s_mov_b64 s[40:41], 0
	s_mov_b32 s46, 0x7f7fffff
	v_mov_b32_e32 v13, 0xff7fffff
	v_lshl_or_b32 v15, v14, 2, v2
	v_mov_b32_e32 v16, 0x7c
	s_branch .LBB19_126
.LBB19_125:                             ;   in Loop: Header=BB19_126 Depth=1
	s_or_b64 exec, exec, s[8:9]
	s_add_u32 s40, s40, 1
	s_addc_u32 s41, s41, 0
	v_pk_mov_b32 v[2:3], s[40:41], s[40:41] op_sel:[0,1]
	v_cmp_le_i64_e32 vcc, s[28:29], v[2:3]
	s_cbranch_vccnz .LBB19_201
.LBB19_126:                             ; =>This Loop Header: Depth=1
                                        ;     Child Loop BB19_129 Depth 2
                                        ;     Child Loop BB19_133 Depth 2
                                        ;     Child Loop BB19_176 Depth 2
                                        ;     Child Loop BB19_195 Depth 2
	buffer_load_dword v17, off, s[0:3], 0 offset:128
	v_mov_b32_e32 v2, v0
	s_waitcnt vmcnt(0)
	v_cmp_eq_f32_e32 vcc, s46, v17
	s_or_b64 s[8:9], s[30:31], vcc
	v_cndmask_b32_e32 v3, v17, v13, vcc
	s_xor_b64 s[10:11], s[8:9], -1
	s_and_saveexec_b64 s[8:9], s[10:11]
	s_cbranch_execz .LBB19_135
; %bb.127:                              ;   in Loop: Header=BB19_126 Depth=1
	s_and_b64 vcc, exec, s[6:7]
	s_mov_b32 s10, 1
	s_cbranch_vccnz .LBB19_131
; %bb.128:                              ;   in Loop: Header=BB19_126 Depth=1
	s_mov_b32 s11, 0
	v_mov_b32_e32 v3, v11
	v_mov_b32_e32 v2, v0
.LBB19_129:                             ;   Parent Loop BB19_126 Depth=1
                                        ; =>  This Inner Loop Header: Depth=2
	buffer_load_dword v19, v3, s[0:3], 0 offen
	buffer_load_dword v20, v3, s[0:3], 0 offen offset:4
	buffer_load_dword v21, v3, s[0:3], 0 offen offset:8
	;; [unrolled: 1-line block ×7, first 2 shown]
	s_mov_b32 s10, s11
	v_add_u32_e32 v27, s10, v0
	v_add_u32_e32 v28, 1, v27
	;; [unrolled: 1-line block ×8, first 2 shown]
	s_add_i32 s11, s11, 8
	v_add_u32_e32 v27, 8, v27
	v_add_u32_e32 v3, 32, v3
	s_cmp_lg_u32 s33, s11
	s_waitcnt vmcnt(7)
	v_cmp_gt_f32_e32 vcc, v19, v17
	v_cndmask_b32_e32 v17, v17, v19, vcc
	v_cndmask_b32_e32 v2, v2, v28, vcc
	s_waitcnt vmcnt(6)
	v_cmp_gt_f32_e32 vcc, v20, v17
	v_cndmask_b32_e32 v17, v17, v20, vcc
	v_cndmask_b32_e32 v2, v2, v29, vcc
	;; [unrolled: 4-line block ×8, first 2 shown]
	s_cbranch_scc1 .LBB19_129
; %bb.130:                              ;   in Loop: Header=BB19_126 Depth=1
	s_add_i32 s10, s10, 9
	s_andn2_b64 vcc, exec, s[34:35]
	s_cbranch_vccz .LBB19_132
	s_branch .LBB19_134
.LBB19_131:                             ;   in Loop: Header=BB19_126 Depth=1
	v_mov_b32_e32 v2, v0
	s_andn2_b64 vcc, exec, s[34:35]
	s_cbranch_vccnz .LBB19_134
.LBB19_132:                             ;   in Loop: Header=BB19_126 Depth=1
	v_add_u32_e32 v3, s10, v0
	s_lshl_b32 s10, s10, 2
	v_add_u32_e32 v19, s10, v10
	s_mov_b32 s10, s25
.LBB19_133:                             ;   Parent Loop BB19_126 Depth=1
                                        ; =>  This Inner Loop Header: Depth=2
	buffer_load_dword v20, v19, s[0:3], 0 offen
	s_add_i32 s10, s10, -1
	v_add_u32_e32 v19, 4, v19
	s_cmp_lg_u32 s10, 0
	s_waitcnt vmcnt(0)
	v_cmp_gt_f32_e32 vcc, v20, v17
	v_cndmask_b32_e32 v17, v17, v20, vcc
	v_cndmask_b32_e32 v2, v2, v3, vcc
	v_add_u32_e32 v3, 1, v3
	s_cbranch_scc1 .LBB19_133
.LBB19_134:                             ;   in Loop: Header=BB19_126 Depth=1
	v_mov_b32_e32 v3, v17
.LBB19_135:                             ;   in Loop: Header=BB19_126 Depth=1
	s_or_b64 exec, exec, s[8:9]
	s_cmp_lt_i32 s24, 16
	s_cbranch_scc1 .LBB19_141
; %bb.136:                              ;   in Loop: Header=BB19_126 Depth=1
	s_cmp_lt_i32 s24, 32
	s_cbranch_scc1 .LBB19_142
; %bb.137:                              ;   in Loop: Header=BB19_126 Depth=1
	;; [unrolled: 3-line block ×3, first 2 shown]
	s_cmp_eq_u32 s24, 64
	v_mov_b32_e32 v17, v2
	s_cbranch_scc0 .LBB19_140
; %bb.139:                              ;   in Loop: Header=BB19_126 Depth=1
	s_nop 0
	v_mov_b32_dpp v17, v2 quad_perm:[1,0,3,2] row_mask:0xf bank_mask:0xf
	v_mov_b32_dpp v19, v3 quad_perm:[1,0,3,2] row_mask:0xf bank_mask:0xf
	v_cmp_eq_f32_e64 s[8:9], v3, v19
	v_cmp_lt_i32_e64 s[10:11], v2, v17
	v_cmp_gt_f32_e32 vcc, v3, v19
	s_and_b64 s[8:9], s[8:9], s[10:11]
	s_or_b64 vcc, vcc, s[8:9]
	v_cndmask_b32_e32 v19, v19, v3, vcc
	v_cndmask_b32_e32 v17, v17, v2, vcc
	s_nop 0
	v_mov_b32_dpp v21, v19 quad_perm:[2,3,0,1] row_mask:0xf bank_mask:0xf
	v_mov_b32_dpp v20, v17 quad_perm:[2,3,0,1] row_mask:0xf bank_mask:0xf
	v_cmp_eq_f32_e32 vcc, v19, v21
	v_cmp_lt_i32_e64 s[8:9], v17, v20
	s_and_b64 vcc, vcc, s[8:9]
	v_cmp_gt_f32_e64 s[8:9], v19, v21
	v_cndmask_b32_e32 v22, v21, v19, vcc
	s_or_b64 vcc, s[8:9], vcc
	v_cndmask_b32_e64 v19, v22, v19, s[8:9]
	v_cndmask_b32_e32 v17, v20, v17, vcc
	s_nop 0
	v_mov_b32_dpp v21, v19 row_ror:4 row_mask:0xf bank_mask:0xf
	v_mov_b32_dpp v20, v17 row_ror:4 row_mask:0xf bank_mask:0xf
	v_cmp_eq_f32_e32 vcc, v19, v21
	v_cmp_lt_i32_e64 s[8:9], v17, v20
	s_and_b64 vcc, vcc, s[8:9]
	v_cmp_gt_f32_e64 s[8:9], v19, v21
	v_cndmask_b32_e32 v22, v21, v19, vcc
	s_or_b64 vcc, s[8:9], vcc
	v_cndmask_b32_e64 v19, v22, v19, s[8:9]
	v_cndmask_b32_e32 v17, v20, v17, vcc
	s_nop 0
	v_mov_b32_dpp v21, v19 row_ror:8 row_mask:0xf bank_mask:0xf
	v_mov_b32_dpp v20, v17 row_ror:8 row_mask:0xf bank_mask:0xf
	v_cmp_eq_f32_e32 vcc, v19, v21
	v_cmp_lt_i32_e64 s[8:9], v17, v20
	s_and_b64 vcc, vcc, s[8:9]
	v_cmp_gt_f32_e64 s[8:9], v19, v21
	v_cndmask_b32_e32 v22, v21, v19, vcc
	s_or_b64 vcc, s[8:9], vcc
	v_cndmask_b32_e64 v19, v22, v19, s[8:9]
	v_cndmask_b32_e32 v17, v20, v17, vcc
	s_nop 0
	v_mov_b32_dpp v21, v19 row_bcast:15 row_mask:0xf bank_mask:0xf
	v_mov_b32_dpp v20, v17 row_bcast:15 row_mask:0xf bank_mask:0xf
	v_cmp_eq_f32_e32 vcc, v19, v21
	v_cmp_lt_i32_e64 s[8:9], v17, v20
	s_and_b64 vcc, vcc, s[8:9]
	v_cmp_gt_f32_e64 s[8:9], v19, v21
	v_cndmask_b32_e32 v22, v21, v19, vcc
	s_or_b64 vcc, s[8:9], vcc
	v_cndmask_b32_e64 v19, v22, v19, s[8:9]
	v_cndmask_b32_e32 v17, v20, v17, vcc
	s_nop 0
	v_mov_b32_dpp v21, v19 row_bcast:31 row_mask:0xf bank_mask:0xf
	v_mov_b32_dpp v20, v17 row_bcast:31 row_mask:0xf bank_mask:0xf
	v_min_i32_e32 v22, v17, v20
	v_cmp_eq_f32_e32 vcc, v19, v21
	v_cndmask_b32_e32 v20, v20, v22, vcc
	v_cmp_gt_f32_e32 vcc, v19, v21
	v_cndmask_b32_e32 v17, v20, v17, vcc
	ds_bpermute_b32 v17, v15, v17
.LBB19_140:                             ;   in Loop: Header=BB19_126 Depth=1
	s_cbranch_execz .LBB19_144
	s_branch .LBB19_146
.LBB19_141:                             ;   in Loop: Header=BB19_126 Depth=1
                                        ; implicit-def: $vgpr17
	s_branch .LBB19_152
.LBB19_142:                             ;   in Loop: Header=BB19_126 Depth=1
                                        ; implicit-def: $vgpr17
	s_branch .LBB19_147
.LBB19_143:                             ;   in Loop: Header=BB19_126 Depth=1
                                        ; implicit-def: $vgpr17
.LBB19_144:                             ;   in Loop: Header=BB19_126 Depth=1
	s_cmp_eq_u32 s24, 32
	s_waitcnt lgkmcnt(0)
	v_mov_b32_e32 v17, v2
	s_cbranch_scc0 .LBB19_146
; %bb.145:                              ;   in Loop: Header=BB19_126 Depth=1
	s_nop 0
	v_mov_b32_dpp v17, v2 quad_perm:[1,0,3,2] row_mask:0xf bank_mask:0xf
	v_mov_b32_dpp v19, v3 quad_perm:[1,0,3,2] row_mask:0xf bank_mask:0xf
	v_cmp_eq_f32_e64 s[8:9], v3, v19
	v_cmp_lt_i32_e64 s[10:11], v2, v17
	v_cmp_gt_f32_e32 vcc, v3, v19
	s_and_b64 s[8:9], s[8:9], s[10:11]
	s_or_b64 vcc, vcc, s[8:9]
	v_cndmask_b32_e32 v19, v19, v3, vcc
	v_cndmask_b32_e32 v17, v17, v2, vcc
	s_nop 0
	v_mov_b32_dpp v21, v19 quad_perm:[2,3,0,1] row_mask:0xf bank_mask:0xf
	v_mov_b32_dpp v20, v17 quad_perm:[2,3,0,1] row_mask:0xf bank_mask:0xf
	v_cmp_eq_f32_e32 vcc, v19, v21
	v_cmp_lt_i32_e64 s[8:9], v17, v20
	s_and_b64 vcc, vcc, s[8:9]
	v_cmp_gt_f32_e64 s[8:9], v19, v21
	v_cndmask_b32_e32 v22, v21, v19, vcc
	s_or_b64 vcc, s[8:9], vcc
	v_cndmask_b32_e64 v19, v22, v19, s[8:9]
	v_cndmask_b32_e32 v17, v20, v17, vcc
	s_nop 0
	v_mov_b32_dpp v21, v19 row_half_mirror row_mask:0xf bank_mask:0xf
	v_mov_b32_dpp v20, v17 row_half_mirror row_mask:0xf bank_mask:0xf
	v_cmp_eq_f32_e32 vcc, v19, v21
	v_cmp_lt_i32_e64 s[8:9], v17, v20
	s_and_b64 vcc, vcc, s[8:9]
	v_cmp_gt_f32_e64 s[8:9], v19, v21
	v_cndmask_b32_e32 v22, v21, v19, vcc
	s_or_b64 vcc, s[8:9], vcc
	v_cndmask_b32_e64 v19, v22, v19, s[8:9]
	v_cndmask_b32_e32 v17, v20, v17, vcc
	s_nop 0
	v_mov_b32_dpp v21, v19 row_mirror row_mask:0xf bank_mask:0xf
	v_mov_b32_dpp v20, v17 row_mirror row_mask:0xf bank_mask:0xf
	v_cmp_eq_f32_e32 vcc, v19, v21
	v_cmp_lt_i32_e64 s[8:9], v17, v20
	s_and_b64 vcc, vcc, s[8:9]
	v_cmp_gt_f32_e64 s[8:9], v19, v21
	v_cndmask_b32_e32 v22, v21, v19, vcc
	s_or_b64 vcc, s[8:9], vcc
	v_cndmask_b32_e64 v19, v22, v19, s[8:9]
	v_cndmask_b32_e32 v17, v20, v17, vcc
	s_nop 0
	v_mov_b32_dpp v21, v19 row_bcast:15 row_mask:0xa bank_mask:0xf
	v_mov_b32_dpp v20, v17 row_bcast:15 row_mask:0xa bank_mask:0xf
	v_min_i32_e32 v22, v17, v20
	v_cmp_eq_f32_e32 vcc, v19, v21
	v_cndmask_b32_e32 v20, v20, v22, vcc
	v_cmp_gt_f32_e32 vcc, v19, v21
	v_cndmask_b32_e32 v17, v20, v17, vcc
	v_lshl_or_b32 v19, v14, 2, v16
	ds_bpermute_b32 v17, v19, v17
.LBB19_146:                             ;   in Loop: Header=BB19_126 Depth=1
	s_cbranch_execnz .LBB19_151
.LBB19_147:                             ;   in Loop: Header=BB19_126 Depth=1
	s_cmp_eq_u32 s24, 16
	s_waitcnt lgkmcnt(0)
	v_mov_b32_e32 v17, v2
	s_cbranch_scc0 .LBB19_151
; %bb.148:                              ;   in Loop: Header=BB19_126 Depth=1
	s_nop 0
	v_mov_b32_dpp v17, v2 quad_perm:[1,0,3,2] row_mask:0xf bank_mask:0xf
	v_mov_b32_dpp v19, v3 quad_perm:[1,0,3,2] row_mask:0xf bank_mask:0xf
	v_cmp_eq_f32_e64 s[8:9], v3, v19
	v_cmp_lt_i32_e64 s[10:11], v2, v17
	v_cmp_gt_f32_e32 vcc, v3, v19
	s_and_b64 s[8:9], s[8:9], s[10:11]
	s_or_b64 vcc, vcc, s[8:9]
	v_cndmask_b32_e32 v19, v19, v3, vcc
	v_cndmask_b32_e32 v17, v17, v2, vcc
	s_nop 0
	v_mov_b32_dpp v21, v19 quad_perm:[2,3,0,1] row_mask:0xf bank_mask:0xf
	v_mov_b32_dpp v20, v17 quad_perm:[2,3,0,1] row_mask:0xf bank_mask:0xf
	v_cmp_eq_f32_e32 vcc, v19, v21
	v_cmp_lt_i32_e64 s[8:9], v17, v20
	s_and_b64 vcc, vcc, s[8:9]
	v_cmp_gt_f32_e64 s[8:9], v19, v21
	v_cndmask_b32_e32 v22, v21, v19, vcc
	s_or_b64 vcc, s[8:9], vcc
	v_cndmask_b32_e64 v19, v22, v19, s[8:9]
	v_cndmask_b32_e32 v17, v20, v17, vcc
	s_nop 0
	v_mov_b32_dpp v21, v19 row_half_mirror row_mask:0xf bank_mask:0xf
	v_mov_b32_dpp v20, v17 row_half_mirror row_mask:0xf bank_mask:0xf
	v_cmp_eq_f32_e32 vcc, v19, v21
	v_cmp_lt_i32_e64 s[8:9], v17, v20
	s_and_b64 vcc, vcc, s[8:9]
	v_cndmask_b32_e32 v22, v21, v19, vcc
	v_cmp_gt_f32_e64 s[8:9], v19, v21
	v_cndmask_b32_e64 v19, v22, v19, s[8:9]
	s_or_b64 vcc, s[8:9], vcc
	v_cndmask_b32_e32 v17, v20, v17, vcc
	v_mov_b32_dpp v21, v19 row_mirror row_mask:0xf bank_mask:0xf
	v_cmp_ngt_f32_e32 vcc, v19, v21
	v_mov_b32_dpp v20, v17 row_mirror row_mask:0xf bank_mask:0xf
	s_and_saveexec_b64 s[8:9], vcc
; %bb.149:                              ;   in Loop: Header=BB19_126 Depth=1
	v_min_i32_e32 v17, v17, v20
	v_cmp_eq_f32_e32 vcc, v19, v21
	v_cndmask_b32_e32 v17, v20, v17, vcc
; %bb.150:                              ;   in Loop: Header=BB19_126 Depth=1
	s_or_b64 exec, exec, s[8:9]
.LBB19_151:                             ;   in Loop: Header=BB19_126 Depth=1
	s_cbranch_execnz .LBB19_171
.LBB19_152:                             ;   in Loop: Header=BB19_126 Depth=1
	s_cmp_lt_i32 s24, 4
	s_cbranch_scc1 .LBB19_159
; %bb.153:                              ;   in Loop: Header=BB19_126 Depth=1
	s_cmp_lt_i32 s24, 8
	s_cbranch_scc1 .LBB19_160
; %bb.154:                              ;   in Loop: Header=BB19_126 Depth=1
	s_cmp_eq_u32 s24, 8
	s_waitcnt lgkmcnt(0)
	v_mov_b32_e32 v17, v2
	s_cbranch_scc0 .LBB19_158
; %bb.155:                              ;   in Loop: Header=BB19_126 Depth=1
	s_nop 0
	v_mov_b32_dpp v17, v2 quad_perm:[1,0,3,2] row_mask:0xf bank_mask:0xf
	v_mov_b32_dpp v19, v3 quad_perm:[1,0,3,2] row_mask:0xf bank_mask:0xf
	v_cmp_eq_f32_e64 s[8:9], v3, v19
	v_cmp_lt_i32_e64 s[10:11], v2, v17
	v_cmp_gt_f32_e32 vcc, v3, v19
	s_and_b64 s[8:9], s[8:9], s[10:11]
	s_or_b64 vcc, vcc, s[8:9]
	v_cndmask_b32_e32 v19, v19, v3, vcc
	v_cndmask_b32_e32 v17, v17, v2, vcc
	s_nop 0
	v_mov_b32_dpp v21, v19 quad_perm:[2,3,0,1] row_mask:0xf bank_mask:0xf
	v_mov_b32_dpp v20, v17 quad_perm:[2,3,0,1] row_mask:0xf bank_mask:0xf
	v_cmp_eq_f32_e32 vcc, v19, v21
	v_cmp_lt_i32_e64 s[8:9], v17, v20
	s_and_b64 vcc, vcc, s[8:9]
	v_cndmask_b32_e32 v22, v21, v19, vcc
	v_cmp_gt_f32_e64 s[8:9], v19, v21
	v_cndmask_b32_e64 v19, v22, v19, s[8:9]
	s_or_b64 vcc, s[8:9], vcc
	v_cndmask_b32_e32 v17, v20, v17, vcc
	v_mov_b32_dpp v21, v19 row_half_mirror row_mask:0xf bank_mask:0xf
	v_cmp_ngt_f32_e32 vcc, v19, v21
	v_mov_b32_dpp v20, v17 row_half_mirror row_mask:0xf bank_mask:0xf
	s_and_saveexec_b64 s[8:9], vcc
; %bb.156:                              ;   in Loop: Header=BB19_126 Depth=1
	v_min_i32_e32 v17, v17, v20
	v_cmp_eq_f32_e32 vcc, v19, v21
	v_cndmask_b32_e32 v17, v20, v17, vcc
; %bb.157:                              ;   in Loop: Header=BB19_126 Depth=1
	s_or_b64 exec, exec, s[8:9]
.LBB19_158:                             ;   in Loop: Header=BB19_126 Depth=1
	s_cbranch_execz .LBB19_161
	s_branch .LBB19_165
.LBB19_159:                             ;   in Loop: Header=BB19_126 Depth=1
                                        ; implicit-def: $vgpr17
	s_branch .LBB19_166
.LBB19_160:                             ;   in Loop: Header=BB19_126 Depth=1
                                        ; implicit-def: $vgpr17
.LBB19_161:                             ;   in Loop: Header=BB19_126 Depth=1
	s_cmp_eq_u32 s24, 4
	s_waitcnt lgkmcnt(0)
	v_mov_b32_e32 v17, v2
	s_cbranch_scc0 .LBB19_165
; %bb.162:                              ;   in Loop: Header=BB19_126 Depth=1
	s_nop 0
	v_mov_b32_dpp v17, v2 quad_perm:[1,0,3,2] row_mask:0xf bank_mask:0xf
	v_mov_b32_dpp v19, v3 quad_perm:[1,0,3,2] row_mask:0xf bank_mask:0xf
	v_cmp_eq_f32_e64 s[8:9], v3, v19
	v_cmp_lt_i32_e64 s[10:11], v2, v17
	v_cmp_gt_f32_e32 vcc, v3, v19
	s_and_b64 s[8:9], s[8:9], s[10:11]
	s_or_b64 vcc, vcc, s[8:9]
	v_cndmask_b32_e32 v19, v19, v3, vcc
	v_cndmask_b32_e32 v17, v17, v2, vcc
	s_nop 0
	v_mov_b32_dpp v21, v19 quad_perm:[2,3,0,1] row_mask:0xf bank_mask:0xf
	v_mov_b32_dpp v20, v17 quad_perm:[2,3,0,1] row_mask:0xf bank_mask:0xf
	v_cmp_ngt_f32_e32 vcc, v19, v21
	s_and_saveexec_b64 s[8:9], vcc
; %bb.163:                              ;   in Loop: Header=BB19_126 Depth=1
	v_min_i32_e32 v17, v17, v20
	v_cmp_eq_f32_e32 vcc, v19, v21
	v_cndmask_b32_e32 v17, v20, v17, vcc
; %bb.164:                              ;   in Loop: Header=BB19_126 Depth=1
	s_or_b64 exec, exec, s[8:9]
.LBB19_165:                             ;   in Loop: Header=BB19_126 Depth=1
	s_cbranch_execnz .LBB19_171
.LBB19_166:                             ;   in Loop: Header=BB19_126 Depth=1
	s_cmp_lg_u32 s24, 2
	s_cbranch_scc1 .LBB19_170
; %bb.167:                              ;   in Loop: Header=BB19_126 Depth=1
	v_mov_b32_dpp v19, v3 quad_perm:[1,0,3,2] row_mask:0xf bank_mask:0xf
	s_waitcnt lgkmcnt(0)
	v_mov_b32_dpp v17, v2 quad_perm:[1,0,3,2] row_mask:0xf bank_mask:0xf
	v_cmp_ngt_f32_e32 vcc, v3, v19
	s_and_saveexec_b64 s[8:9], vcc
; %bb.168:                              ;   in Loop: Header=BB19_126 Depth=1
	v_min_i32_e32 v2, v2, v17
	v_cmp_eq_f32_e32 vcc, v3, v19
	v_cndmask_b32_e32 v2, v17, v2, vcc
; %bb.169:                              ;   in Loop: Header=BB19_126 Depth=1
	s_or_b64 exec, exec, s[8:9]
.LBB19_170:                             ;   in Loop: Header=BB19_126 Depth=1
	s_waitcnt lgkmcnt(0)
	v_mov_b32_e32 v17, v2
.LBB19_171:                             ;   in Loop: Header=BB19_126 Depth=1
	s_waitcnt lgkmcnt(0)
	v_sub_u32_e32 v3, 0, v17
	v_max_i32_e32 v3, v17, v3
	v_mul_hi_u32 v19, v3, v5
	v_mul_lo_u32 v20, v19, s44
	v_sub_u32_e32 v3, v3, v20
	v_add_u32_e32 v20, 1, v19
	v_cmp_le_u32_e32 vcc, s44, v3
	v_cndmask_b32_e32 v19, v19, v20, vcc
	v_subrev_u32_e32 v20, s44, v3
	v_cndmask_b32_e32 v3, v3, v20, vcc
	v_ashrrev_i32_e32 v2, 31, v17
	v_add_u32_e32 v20, 1, v19
	v_cmp_le_u32_e32 vcc, s44, v3
	v_xor_b32_e32 v2, s45, v2
	v_cndmask_b32_e32 v3, v19, v20, vcc
	v_xor_b32_e32 v3, v3, v2
	v_sub_u32_e32 v2, v3, v2
	v_cmp_eq_u32_e32 vcc, v12, v2
	s_and_saveexec_b64 s[8:9], vcc
	s_cbranch_execz .LBB19_198
; %bb.172:                              ;   in Loop: Header=BB19_126 Depth=1
	s_andn2_b64 vcc, exec, s[20:21]
	s_cbranch_vccnz .LBB19_197
; %bb.173:                              ;   in Loop: Header=BB19_126 Depth=1
	s_lshl_b64 s[10:11], s[40:41], 2
	v_sub_u32_e32 v21, v17, v0
	v_mov_b32_e32 v3, s11
	v_add_co_u32_e32 v2, vcc, s10, v8
	v_addc_co_u32_e32 v3, vcc, v9, v3, vcc
	v_lshlrev_b32_e32 v20, 2, v21
	v_add_u32_e32 v19, 0, v20
	v_add_u32_e32 v20, 0x80, v20
	s_andn2_b64 vcc, exec, s[36:37]
	s_mov_b32 s10, 0
	s_cbranch_vccz .LBB19_176
; %bb.174:                              ;   in Loop: Header=BB19_126 Depth=1
	s_andn2_b64 vcc, exec, s[38:39]
	s_cbranch_vccz .LBB19_193
	s_branch .LBB19_197
.LBB19_175:                             ;   in Loop: Header=BB19_176 Depth=2
	s_or_b64 exec, exec, s[10:11]
	s_add_i32 s10, s48, 1
	s_cmp_eq_u32 s10, s43
	s_cbranch_scc1 .LBB19_192
.LBB19_176:                             ;   Parent Loop BB19_126 Depth=1
                                        ; =>  This Inner Loop Header: Depth=2
	s_mov_b32 s47, s10
	v_cmp_eq_u32_e32 vcc, s47, v21
	s_and_saveexec_b64 s[10:11], vcc
	s_cbranch_execz .LBB19_178
; %bb.177:                              ;   in Loop: Header=BB19_176 Depth=2
	buffer_load_dword v22, v19, s[0:3], 0 offen
	s_nop 0
	buffer_store_dword v13, v20, s[0:3], 0 offen
	s_waitcnt vmcnt(0)
	flat_store_dword v[2:3], v22
.LBB19_178:                             ;   in Loop: Header=BB19_176 Depth=2
	s_or_b64 exec, exec, s[10:11]
	s_add_i32 s48, s47, 1
	v_cmp_eq_u32_e32 vcc, s48, v21
	s_and_saveexec_b64 s[10:11], vcc
	s_cbranch_execz .LBB19_180
; %bb.179:                              ;   in Loop: Header=BB19_176 Depth=2
	buffer_load_dword v22, v19, s[0:3], 0 offen
	s_nop 0
	buffer_store_dword v13, v20, s[0:3], 0 offen
	s_waitcnt vmcnt(0)
	flat_store_dword v[2:3], v22
.LBB19_180:                             ;   in Loop: Header=BB19_176 Depth=2
	s_or_b64 exec, exec, s[10:11]
	s_add_i32 s48, s48, 1
	;; [unrolled: 12-line block ×7, first 2 shown]
	v_cmp_eq_u32_e32 vcc, s48, v21
	s_and_saveexec_b64 s[10:11], vcc
	s_cbranch_execz .LBB19_175
; %bb.191:                              ;   in Loop: Header=BB19_176 Depth=2
	buffer_load_dword v22, v19, s[0:3], 0 offen
	s_nop 0
	buffer_store_dword v13, v20, s[0:3], 0 offen
	s_waitcnt vmcnt(0)
	flat_store_dword v[2:3], v22
	s_branch .LBB19_175
.LBB19_192:                             ;   in Loop: Header=BB19_126 Depth=1
	s_add_i32 s10, s47, 8
	s_andn2_b64 vcc, exec, s[38:39]
	s_cbranch_vccnz .LBB19_197
.LBB19_193:                             ;   in Loop: Header=BB19_126 Depth=1
	v_add_u32_e32 v21, s10, v0
	v_sub_u32_e32 v21, v21, v17
	s_mov_b32 s47, s42
	s_branch .LBB19_195
.LBB19_194:                             ;   in Loop: Header=BB19_195 Depth=2
	s_or_b64 exec, exec, s[10:11]
	s_add_i32 s47, s47, -1
	s_cmp_lg_u32 s47, 0
	v_add_u32_e32 v21, 1, v21
	s_cbranch_scc0 .LBB19_197
.LBB19_195:                             ;   Parent Loop BB19_126 Depth=1
                                        ; =>  This Inner Loop Header: Depth=2
	v_cmp_eq_u32_e32 vcc, 0, v21
	s_and_saveexec_b64 s[10:11], vcc
	s_cbranch_execz .LBB19_194
; %bb.196:                              ;   in Loop: Header=BB19_195 Depth=2
	buffer_load_dword v22, v19, s[0:3], 0 offen
	s_nop 0
	buffer_store_dword v13, v20, s[0:3], 0 offen
	s_waitcnt vmcnt(0)
	flat_store_dword v[2:3], v22
	s_branch .LBB19_194
.LBB19_197:                             ;   in Loop: Header=BB19_126 Depth=1
	s_lshl_b64 s[10:11], s[40:41], 2
	v_mov_b32_e32 v3, s11
	v_add_co_u32_e32 v2, vcc, s10, v1
	v_addc_co_u32_e32 v3, vcc, v4, v3, vcc
	global_store_dword v[2:3], v17, off
.LBB19_198:                             ;   in Loop: Header=BB19_126 Depth=1
	s_or_b64 exec, exec, s[8:9]
	s_waitcnt lgkmcnt(0)
	s_barrier
	s_and_saveexec_b64 s[8:9], s[4:5]
	s_cbranch_execz .LBB19_125
; %bb.199:                              ;   in Loop: Header=BB19_126 Depth=1
	s_lshl_b64 s[10:11], s[40:41], 2
	v_mov_b32_e32 v3, s11
	v_add_co_u32_e32 v2, vcc, s10, v8
	v_addc_co_u32_e32 v3, vcc, v9, v3, vcc
	flat_load_dword v2, v[2:3]
	s_waitcnt vmcnt(0) lgkmcnt(0)
	v_add_f32_e32 v18, v18, v2
	s_branch .LBB19_125
.LBB19_200:
	v_mov_b32_e32 v18, 0
.LBB19_201:
	v_cmp_eq_u32_e64 s[4:5], 0, v12
	v_cmp_gt_i64_e64 s[6:7], s[14:15], 0
	s_and_b64 s[8:9], s[6:7], s[4:5]
	s_and_saveexec_b64 s[6:7], s[8:9]
	s_cbranch_execz .LBB19_214
; %bb.202:
	v_cmp_le_u64_e32 vcc, s[14:15], v[6:7]
	v_pk_mov_b32 v[0:1], v[6:7], v[6:7] op_sel:[0,1]
	s_and_saveexec_b64 s[8:9], vcc
	s_cbranch_execz .LBB19_204
; %bb.203:
	v_cvt_f32_u32_e32 v0, s14
	s_sub_i32 s10, 0, s14
	v_rcp_iflag_f32_e32 v0, v0
	v_mul_f32_e32 v0, 0x4f7ffffe, v0
	v_cvt_u32_f32_e32 v0, v0
	v_mul_lo_u32 v1, s10, v0
	v_mul_hi_u32 v1, v0, v1
	v_add_u32_e32 v0, v0, v1
	v_mul_hi_u32 v0, v6, v0
	v_mul_lo_u32 v0, v0, s14
	v_sub_u32_e32 v0, v6, v0
	v_subrev_u32_e32 v1, s14, v0
	v_cmp_le_u32_e32 vcc, s14, v0
	v_cndmask_b32_e32 v0, v0, v1, vcc
	v_subrev_u32_e32 v1, s14, v0
	v_cmp_le_u32_e32 vcc, s14, v0
	v_cndmask_b32_e32 v0, v0, v1, vcc
	v_mov_b32_e32 v1, 0
.LBB19_204:
	s_or_b64 exec, exec, s[8:9]
	v_cvt_f64_f32_e32 v[10:11], v18
	v_pk_mov_b32 v[2:3], s[28:29], s[28:29] op_sel:[0,1]
	v_div_scale_f64 v[16:17], s[8:9], s[26:27], s[26:27], v[10:11]
	v_mad_u64_u32 v[12:13], s[8:9], v6, s23, v[2:3]
	v_rcp_f64_e32 v[20:21], v[16:17]
	s_ashr_i32 s10, s23, 31
	v_mov_b32_e32 v2, v13
	v_mad_u64_u32 v[2:3], s[8:9], v6, s10, v[2:3]
	v_mov_b32_e32 v13, v2
	v_lshlrev_b64 v[14:15], 2, v[12:13]
	v_fma_f64 v[22:23], -v[16:17], v[20:21], 1.0
	v_mov_b32_e32 v3, s19
	v_add_co_u32_e32 v4, vcc, s18, v14
	v_fmac_f64_e32 v[20:21], v[20:21], v[22:23]
	v_addc_co_u32_e32 v5, vcc, v3, v15, vcc
	v_fma_f64 v[22:23], -v[16:17], v[20:21], 1.0
	v_fmac_f64_e32 v[20:21], v[20:21], v[22:23]
	v_div_scale_f64 v[22:23], vcc, v[10:11], s[26:27], v[10:11]
	v_mul_f64 v[24:25], v[22:23], v[20:21]
	v_fma_f64 v[16:17], -v[16:17], v[24:25], v[22:23]
	v_mov_b32_e32 v3, s17
	s_nop 0
	v_div_fmas_f64 v[16:17], v[16:17], v[20:21], v[24:25]
	v_div_fixup_f64 v[10:11], v[16:17], s[26:27], v[10:11]
	v_add_co_u32_e32 v16, vcc, s16, v14
	v_addc_co_u32_e32 v17, vcc, v3, v15, vcc
	v_cmp_lt_u64_e64 s[8:9], s[14:15], 2
	v_add_u32_e32 v2, s22, v0
	v_cvt_f32_f64_e32 v10, v[10:11]
	s_and_b64 vcc, exec, s[8:9]
	global_store_dword v[4:5], v2, off
	global_store_dword v[16:17], v10, off
	s_cbranch_vccnz .LBB19_214
; %bb.205:
	s_cmp_eq_u64 s[14:15], 2
	s_cbranch_scc1 .LBB19_210
; %bb.206:
	v_add_co_u32_e32 v2, vcc, 1, v0
	v_addc_co_u32_e32 v3, vcc, 0, v1, vcc
	s_add_u32 s8, s14, -1
	v_add_co_u32_e32 v14, vcc, 4, v4
	s_addc_u32 s9, s15, -1
	v_addc_co_u32_e32 v15, vcc, 0, v5, vcc
	s_and_b32 s10, s8, -2
	s_mov_b32 s11, s9
	s_add_i32 s24, s22, 1
	v_add_co_u32_e32 v16, vcc, 4, v16
	v_pk_mov_b32 v[4:5], v[2:3], v[2:3] op_sel:[0,1]
	v_mov_b32_e32 v11, v10
	s_mov_b32 s25, s24
	v_addc_co_u32_e32 v17, vcc, 0, v17, vcc
	s_mov_b64 s[20:21], s[10:11]
	v_pk_mov_b32 v[2:3], v[0:1], v[0:1] op_sel:[0,1]
.LBB19_207:                             ; =>This Inner Loop Header: Depth=1
	v_add_u32_e32 v21, s25, v4
	v_add_co_u32_e32 v4, vcc, 2, v4
	v_addc_co_u32_e32 v5, vcc, 0, v5, vcc
	v_add_u32_e32 v20, s24, v2
	v_add_co_u32_e32 v2, vcc, 2, v2
	v_addc_co_u32_e32 v3, vcc, 0, v3, vcc
	global_store_dwordx2 v[16:17], v[10:11], off
	v_add_co_u32_e32 v16, vcc, 8, v16
	v_addc_co_u32_e32 v17, vcc, 0, v17, vcc
	s_add_u32 s20, s20, -2
	global_store_dwordx2 v[14:15], v[20:21], off
	s_addc_u32 s21, s21, -1
	v_add_co_u32_e32 v14, vcc, 8, v14
	s_cmp_lg_u64 s[20:21], 0
	v_addc_co_u32_e32 v15, vcc, 0, v15, vcc
	s_cbranch_scc1 .LBB19_207
; %bb.208:
	s_cmp_eq_u64 s[8:9], s[10:11]
	s_cbranch_scc1 .LBB19_211
; %bb.209:
	v_mov_b32_e32 v1, s11
	v_add_co_u32_e32 v12, vcc, s10, v12
	s_add_i32 s9, s22, s10
	s_or_b32 s8, s8, 1
	v_addc_co_u32_e32 v13, vcc, v13, v1, vcc
	v_add_u32_e32 v2, s9, v0
	s_cbranch_execnz .LBB19_212
	s_branch .LBB19_214
.LBB19_210:
	s_mov_b32 s8, 1
	s_cbranch_execnz .LBB19_212
	s_branch .LBB19_214
.LBB19_211:
	s_mov_b32 s8, 1
                                        ; implicit-def: $vgpr12_vgpr13
                                        ; implicit-def: $vgpr2
	s_branch .LBB19_214
.LBB19_212:
	v_lshlrev_b64 v[0:1], 2, v[12:13]
	v_add_u32_e32 v7, 1, v2
	v_add_co_u32_e32 v2, vcc, 4, v0
	v_addc_co_u32_e32 v3, vcc, 0, v1, vcc
	v_mov_b32_e32 v1, s17
	v_add_co_u32_e32 v0, vcc, s16, v2
	v_addc_co_u32_e32 v1, vcc, v1, v3, vcc
	v_mov_b32_e32 v4, s19
	v_add_co_u32_e32 v2, vcc, s18, v2
	s_mov_b32 s9, 0
	v_addc_co_u32_e32 v3, vcc, v4, v3, vcc
	v_pk_mov_b32 v[4:5], s[14:15], s[14:15] op_sel:[0,1]
.LBB19_213:                             ; =>This Inner Loop Header: Depth=1
	global_store_dword v[2:3], v7, off
	global_store_dword v[0:1], v10, off
	v_add_co_u32_e32 v0, vcc, 4, v0
	v_addc_co_u32_e32 v1, vcc, 0, v1, vcc
	s_add_u32 s8, s8, 1
	v_add_co_u32_e32 v2, vcc, 4, v2
	v_addc_co_u32_e32 v3, vcc, 0, v3, vcc
	s_addc_u32 s9, s9, 0
	v_cmp_lt_u64_e32 vcc, s[8:9], v[4:5]
	v_add_u32_e32 v7, 1, v7
	s_cbranch_vccnz .LBB19_213
.LBB19_214:
	s_or_b64 exec, exec, s[6:7]
	v_cmp_gt_i64_e64 s[8:9], s[12:13], 0
	s_mov_b64 s[6:7], 0
	s_and_b64 s[4:5], s[8:9], s[4:5]
	s_barrier
	s_and_b64 exec, exec, s[4:5]
	s_cbranch_execz .LBB19_221
; %bb.215:
	v_mad_u64_u32 v[0:1], s[4:5], v6, s23, 0
	s_ashr_i32 s8, s23, 31
	v_mov_b32_e32 v2, v1
	v_mad_u64_u32 v[2:3], s[4:5], v6, s8, v[2:3]
	v_mov_b32_e32 v1, v2
	v_lshlrev_b64 v[0:1], 2, v[0:1]
	v_mov_b32_e32 v2, s17
	v_add_co_u32_e32 v4, vcc, s16, v0
	v_addc_co_u32_e32 v5, vcc, v2, v1, vcc
	v_cmp_lt_u64_e64 s[4:5], s[12:13], 8
	s_and_b64 vcc, exec, s[4:5]
	s_cbranch_vccnz .LBB19_218
; %bb.216:
	s_and_b32 s7, s13, 0x7fffffff
	s_and_b32 s6, s12, -8
	s_mov_b64 s[4:5], 0
	s_mov_b64 s[8:9], s[6:7]
.LBB19_217:                             ; =>This Inner Loop Header: Depth=1
	v_mov_b32_e32 v1, s5
	v_add_co_u32_e32 v2, vcc, s4, v8
	v_addc_co_u32_e32 v3, vcc, v9, v1, vcc
	flat_load_dword v6, v[2:3]
	v_add_co_u32_e32 v0, vcc, s4, v4
	v_addc_co_u32_e32 v1, vcc, v5, v1, vcc
	s_add_u32 s4, s4, 32
	s_addc_u32 s5, s5, 0
	s_add_u32 s8, s8, -8
	s_addc_u32 s9, s9, -1
	s_cmp_lg_u64 s[8:9], 0
	s_waitcnt vmcnt(0) lgkmcnt(0)
	v_div_scale_f32 v7, s[10:11], v18, v18, v6
	v_rcp_f32_e32 v11, v7
	v_div_scale_f32 v10, vcc, v6, v18, v6
	v_fma_f32 v12, -v7, v11, 1.0
	v_fmac_f32_e32 v11, v12, v11
	v_mul_f32_e32 v12, v10, v11
	v_fma_f32 v13, -v7, v12, v10
	v_fmac_f32_e32 v12, v13, v11
	v_fma_f32 v7, -v7, v12, v10
	v_div_fmas_f32 v7, v7, v11, v12
	v_div_fixup_f32 v6, v7, v18, v6
	global_store_dword v[0:1], v6, off
	flat_load_dword v6, v[2:3] offset:4
	s_waitcnt vmcnt(0) lgkmcnt(0)
	v_div_scale_f32 v7, s[10:11], v18, v18, v6
	v_rcp_f32_e32 v11, v7
	v_div_scale_f32 v10, vcc, v6, v18, v6
	v_fma_f32 v12, -v7, v11, 1.0
	v_fmac_f32_e32 v11, v12, v11
	v_mul_f32_e32 v12, v10, v11
	v_fma_f32 v13, -v7, v12, v10
	v_fmac_f32_e32 v12, v13, v11
	v_fma_f32 v7, -v7, v12, v10
	v_div_fmas_f32 v7, v7, v11, v12
	v_div_fixup_f32 v6, v7, v18, v6
	global_store_dword v[0:1], v6, off offset:4
	flat_load_dword v6, v[2:3] offset:8
	s_waitcnt vmcnt(0) lgkmcnt(0)
	v_div_scale_f32 v7, s[10:11], v18, v18, v6
	v_rcp_f32_e32 v11, v7
	v_div_scale_f32 v10, vcc, v6, v18, v6
	v_fma_f32 v12, -v7, v11, 1.0
	v_fmac_f32_e32 v11, v12, v11
	v_mul_f32_e32 v12, v10, v11
	v_fma_f32 v13, -v7, v12, v10
	v_fmac_f32_e32 v12, v13, v11
	v_fma_f32 v7, -v7, v12, v10
	v_div_fmas_f32 v7, v7, v11, v12
	v_div_fixup_f32 v6, v7, v18, v6
	global_store_dword v[0:1], v6, off offset:8
	;; [unrolled: 14-line block ×7, first 2 shown]
	s_cbranch_scc1 .LBB19_217
.LBB19_218:
	s_and_b32 s4, s12, 7
	s_mov_b32 s5, 0
	s_cmp_eq_u64 s[4:5], 0
	s_cbranch_scc1 .LBB19_221
; %bb.219:
	s_mov_b64 s[8:9], s[4:5]
.LBB19_220:                             ; =>This Inner Loop Header: Depth=1
	s_lshl_b64 s[10:11], s[6:7], 2
	v_mov_b32_e32 v2, s11
	v_add_co_u32_e32 v0, vcc, s10, v8
	v_addc_co_u32_e32 v1, vcc, v9, v2, vcc
	flat_load_dword v3, v[0:1]
	v_add_co_u32_e32 v0, vcc, s10, v4
	v_addc_co_u32_e32 v1, vcc, v5, v2, vcc
	s_add_i32 s4, s6, 1
	s_add_u32 s8, s8, -1
	s_addc_u32 s9, s9, -1
	s_mov_b64 s[6:7], s[4:5]
	s_cmp_lg_u64 s[8:9], 0
	s_waitcnt vmcnt(0) lgkmcnt(0)
	v_div_scale_f32 v2, s[10:11], v18, v18, v3
	v_rcp_f32_e32 v6, v2
	v_div_scale_f32 v7, vcc, v3, v18, v3
	v_fma_f32 v10, -v2, v6, 1.0
	v_fmac_f32_e32 v6, v10, v6
	v_mul_f32_e32 v10, v7, v6
	v_fma_f32 v11, -v2, v10, v7
	v_fmac_f32_e32 v10, v11, v6
	v_fma_f32 v2, -v2, v10, v7
	v_div_fmas_f32 v2, v2, v6, v10
	v_div_fixup_f32 v2, v2, v18, v3
	global_store_dword v[0:1], v2, off
	s_cbranch_scc1 .LBB19_220
.LBB19_221:
	s_endpgm
	.section	.rodata,"a",@progbits
	.p2align	6, 0x0
	.amdhsa_kernel _Z29moe_fused_gate_kernel_dynamicItEvPvS0_PfPilllllldi
		.amdhsa_group_segment_fixed_size 0
		.amdhsa_private_segment_fixed_size 272
		.amdhsa_kernarg_size 92
		.amdhsa_user_sgpr_count 8
		.amdhsa_user_sgpr_private_segment_buffer 1
		.amdhsa_user_sgpr_dispatch_ptr 0
		.amdhsa_user_sgpr_queue_ptr 0
		.amdhsa_user_sgpr_kernarg_segment_ptr 1
		.amdhsa_user_sgpr_dispatch_id 0
		.amdhsa_user_sgpr_flat_scratch_init 1
		.amdhsa_user_sgpr_kernarg_preload_length 0
		.amdhsa_user_sgpr_kernarg_preload_offset 0
		.amdhsa_user_sgpr_private_segment_size 0
		.amdhsa_uses_dynamic_stack 0
		.amdhsa_system_sgpr_private_segment_wavefront_offset 1
		.amdhsa_system_sgpr_workgroup_id_x 1
		.amdhsa_system_sgpr_workgroup_id_y 0
		.amdhsa_system_sgpr_workgroup_id_z 0
		.amdhsa_system_sgpr_workgroup_info 0
		.amdhsa_system_vgpr_workitem_id 1
		.amdhsa_next_free_vgpr 40
		.amdhsa_next_free_sgpr 49
		.amdhsa_accum_offset 40
		.amdhsa_reserve_vcc 1
		.amdhsa_reserve_flat_scratch 1
		.amdhsa_float_round_mode_32 0
		.amdhsa_float_round_mode_16_64 0
		.amdhsa_float_denorm_mode_32 3
		.amdhsa_float_denorm_mode_16_64 3
		.amdhsa_dx10_clamp 1
		.amdhsa_ieee_mode 1
		.amdhsa_fp16_overflow 0
		.amdhsa_tg_split 0
		.amdhsa_exception_fp_ieee_invalid_op 0
		.amdhsa_exception_fp_denorm_src 0
		.amdhsa_exception_fp_ieee_div_zero 0
		.amdhsa_exception_fp_ieee_overflow 0
		.amdhsa_exception_fp_ieee_underflow 0
		.amdhsa_exception_fp_ieee_inexact 0
		.amdhsa_exception_int_div_zero 0
	.end_amdhsa_kernel
	.section	.text._Z29moe_fused_gate_kernel_dynamicItEvPvS0_PfPilllllldi,"axG",@progbits,_Z29moe_fused_gate_kernel_dynamicItEvPvS0_PfPilllllldi,comdat
.Lfunc_end19:
	.size	_Z29moe_fused_gate_kernel_dynamicItEvPvS0_PfPilllllldi, .Lfunc_end19-_Z29moe_fused_gate_kernel_dynamicItEvPvS0_PfPilllllldi
                                        ; -- End function
	.section	.AMDGPU.csdata,"",@progbits
; Kernel info:
; codeLenInByte = 12412
; NumSgprs: 55
; NumVgprs: 40
; NumAgprs: 0
; TotalNumVgprs: 40
; ScratchSize: 272
; MemoryBound: 0
; FloatMode: 240
; IeeeMode: 1
; LDSByteSize: 0 bytes/workgroup (compile time only)
; SGPRBlocks: 6
; VGPRBlocks: 4
; NumSGPRsForWavesPerEU: 55
; NumVGPRsForWavesPerEU: 40
; AccumOffset: 40
; Occupancy: 8
; WaveLimiterHint : 0
; COMPUTE_PGM_RSRC2:SCRATCH_EN: 1
; COMPUTE_PGM_RSRC2:USER_SGPR: 8
; COMPUTE_PGM_RSRC2:TRAP_HANDLER: 0
; COMPUTE_PGM_RSRC2:TGID_X_EN: 1
; COMPUTE_PGM_RSRC2:TGID_Y_EN: 0
; COMPUTE_PGM_RSRC2:TGID_Z_EN: 0
; COMPUTE_PGM_RSRC2:TIDIG_COMP_CNT: 1
; COMPUTE_PGM_RSRC3_GFX90A:ACCUM_OFFSET: 9
; COMPUTE_PGM_RSRC3_GFX90A:TG_SPLIT: 0
	.section	.text._Z29moe_fused_gate_kernel_dynamicIDF16_EvPvS0_PfPilllllldi,"axG",@progbits,_Z29moe_fused_gate_kernel_dynamicIDF16_EvPvS0_PfPilllllldi,comdat
	.protected	_Z29moe_fused_gate_kernel_dynamicIDF16_EvPvS0_PfPilllllldi ; -- Begin function _Z29moe_fused_gate_kernel_dynamicIDF16_EvPvS0_PfPilllllldi
	.globl	_Z29moe_fused_gate_kernel_dynamicIDF16_EvPvS0_PfPilllllldi
	.p2align	8
	.type	_Z29moe_fused_gate_kernel_dynamicIDF16_EvPvS0_PfPilllllldi,@function
_Z29moe_fused_gate_kernel_dynamicIDF16_EvPvS0_PfPilllllldi: ; @_Z29moe_fused_gate_kernel_dynamicIDF16_EvPvS0_PfPilllllldi
; %bb.0:
	s_load_dwordx16 s[12:27], s[4:5], 0x0
	s_add_u32 flat_scratch_lo, s6, s9
	s_addc_u32 flat_scratch_hi, s7, 0
	s_add_u32 s0, s0, s9
	s_addc_u32 s1, s1, 0
	s_waitcnt lgkmcnt(0)
	s_or_b64 s[6:7], s[22:23], s[24:25]
	s_mov_b32 s6, 0
	s_cmp_lg_u64 s[6:7], 0
	s_cbranch_scc0 .LBB20_12
; %bb.1:
	s_ashr_i32 s10, s25, 31
	s_add_u32 s6, s24, s10
	s_mov_b32 s11, s10
	s_addc_u32 s7, s25, s10
	s_xor_b64 s[30:31], s[6:7], s[10:11]
	v_cvt_f32_u32_e32 v1, s30
	v_cvt_f32_u32_e32 v2, s31
	s_sub_u32 s6, 0, s30
	s_subb_u32 s7, 0, s31
	v_madmk_f32 v1, v2, 0x4f800000, v1
	v_rcp_f32_e32 v1, v1
	v_mul_f32_e32 v1, 0x5f7ffffc, v1
	v_mul_f32_e32 v2, 0x2f800000, v1
	v_trunc_f32_e32 v2, v2
	v_madmk_f32 v1, v2, 0xcf800000, v1
	v_cvt_u32_f32_e32 v2, v2
	v_cvt_u32_f32_e32 v1, v1
	v_readfirstlane_b32 s9, v2
	v_readfirstlane_b32 s33, v1
	s_mul_i32 s34, s6, s9
	s_mul_hi_u32 s36, s6, s33
	s_mul_i32 s35, s7, s33
	s_add_i32 s34, s36, s34
	s_add_i32 s34, s34, s35
	s_mul_i32 s37, s6, s33
	s_mul_hi_u32 s35, s33, s34
	s_mul_i32 s36, s33, s34
	s_mul_hi_u32 s33, s33, s37
	s_add_u32 s33, s33, s36
	s_addc_u32 s35, 0, s35
	s_mul_hi_u32 s38, s9, s37
	s_mul_i32 s37, s9, s37
	s_add_u32 s33, s33, s37
	s_mul_hi_u32 s36, s9, s34
	s_addc_u32 s33, s35, s38
	s_addc_u32 s35, s36, 0
	s_mul_i32 s34, s9, s34
	s_add_u32 s33, s33, s34
	s_addc_u32 s34, 0, s35
	v_add_co_u32_e32 v1, vcc, s33, v1
	s_cmp_lg_u64 vcc, 0
	s_addc_u32 s9, s9, s34
	v_readfirstlane_b32 s34, v1
	s_mul_i32 s33, s6, s9
	s_mul_hi_u32 s35, s6, s34
	s_add_i32 s33, s35, s33
	s_mul_i32 s7, s7, s34
	s_add_i32 s33, s33, s7
	s_mul_i32 s6, s6, s34
	s_mul_hi_u32 s35, s9, s6
	s_mul_i32 s36, s9, s6
	s_mul_i32 s38, s34, s33
	s_mul_hi_u32 s6, s34, s6
	s_mul_hi_u32 s37, s34, s33
	s_add_u32 s6, s6, s38
	s_addc_u32 s34, 0, s37
	s_add_u32 s6, s6, s36
	s_mul_hi_u32 s7, s9, s33
	s_addc_u32 s6, s34, s35
	s_addc_u32 s7, s7, 0
	s_mul_i32 s33, s9, s33
	s_add_u32 s6, s6, s33
	s_addc_u32 s7, 0, s7
	v_add_co_u32_e32 v1, vcc, s6, v1
	s_cmp_lg_u64 vcc, 0
	s_addc_u32 s9, s9, s7
	s_ashr_i32 s34, s23, 31
	s_add_u32 s6, s22, s34
	s_mov_b32 s35, s34
	s_addc_u32 s7, s23, s34
	s_xor_b64 s[36:37], s[6:7], s[34:35]
	v_readfirstlane_b32 s33, v1
	s_mul_i32 s7, s36, s9
	s_mul_hi_u32 s38, s36, s33
	s_mul_hi_u32 s6, s36, s9
	s_add_u32 s7, s38, s7
	s_addc_u32 s6, 0, s6
	s_mul_hi_u32 s39, s37, s33
	s_mul_i32 s33, s37, s33
	s_add_u32 s7, s7, s33
	s_mul_hi_u32 s38, s37, s9
	s_addc_u32 s6, s6, s39
	s_addc_u32 s7, s38, 0
	s_mul_i32 s9, s37, s9
	s_add_u32 s9, s6, s9
	s_addc_u32 s33, 0, s7
	s_mul_i32 s6, s30, s33
	s_mul_hi_u32 s7, s30, s9
	s_add_i32 s6, s7, s6
	s_mul_i32 s7, s31, s9
	s_add_i32 s38, s6, s7
	s_mul_i32 s7, s30, s9
	v_mov_b32_e32 v1, s7
	s_sub_i32 s6, s37, s38
	v_sub_co_u32_e32 v1, vcc, s36, v1
	s_cmp_lg_u64 vcc, 0
	s_subb_u32 s36, s6, s31
	v_subrev_co_u32_e64 v2, s[6:7], s30, v1
	s_cmp_lg_u64 s[6:7], 0
	s_subb_u32 s6, s36, 0
	s_cmp_ge_u32 s6, s31
	v_readfirstlane_b32 s36, v2
	s_cselect_b32 s7, -1, 0
	s_cmp_ge_u32 s36, s30
	s_cselect_b32 s36, -1, 0
	s_cmp_eq_u32 s6, s31
	s_cselect_b32 s6, s36, s7
	s_add_u32 s7, s9, 1
	s_addc_u32 s36, s33, 0
	s_add_u32 s39, s9, 2
	s_addc_u32 s40, s33, 0
	s_cmp_lg_u32 s6, 0
	s_cselect_b32 s6, s39, s7
	s_cselect_b32 s7, s40, s36
	s_cmp_lg_u64 vcc, 0
	s_subb_u32 s36, s37, s38
	s_cmp_ge_u32 s36, s31
	v_readfirstlane_b32 s38, v1
	s_cselect_b32 s37, -1, 0
	s_cmp_ge_u32 s38, s30
	s_cselect_b32 s30, -1, 0
	s_cmp_eq_u32 s36, s31
	s_cselect_b32 s30, s30, s37
	s_cmp_lg_u32 s30, 0
	s_cselect_b32 s7, s7, s33
	s_cselect_b32 s6, s6, s9
	s_xor_b64 s[10:11], s[34:35], s[10:11]
	s_xor_b64 s[6:7], s[6:7], s[10:11]
	s_sub_u32 s10, s6, s10
	s_cbranch_execnz .LBB20_3
.LBB20_2:
	v_cvt_f32_u32_e32 v1, s24
	s_sub_i32 s6, 0, s24
	v_rcp_iflag_f32_e32 v1, v1
	v_mul_f32_e32 v1, 0x4f7ffffe, v1
	v_cvt_u32_f32_e32 v1, v1
	v_readfirstlane_b32 s7, v1
	s_mul_i32 s6, s6, s7
	s_mul_hi_u32 s6, s7, s6
	s_add_i32 s7, s7, s6
	s_mul_hi_u32 s6, s22, s7
	s_mul_i32 s9, s6, s24
	s_sub_i32 s9, s22, s9
	s_add_i32 s7, s6, 1
	s_sub_i32 s10, s9, s24
	s_cmp_ge_u32 s9, s24
	s_cselect_b32 s6, s7, s6
	s_cselect_b32 s9, s10, s9
	s_add_i32 s7, s6, 1
	s_cmp_ge_u32 s9, s24
	s_cselect_b32 s10, s7, s6
.LBB20_3:
	s_mov_b32 s6, 0
	s_mov_b32 s7, s25
	s_cmp_lg_u64 s[6:7], 0
	s_cbranch_scc0 .LBB20_13
; %bb.4:
	s_ashr_i32 s6, s25, 31
	s_add_u32 s28, s24, s6
	s_mov_b32 s7, s6
	s_addc_u32 s29, s25, s6
	s_xor_b64 s[30:31], s[28:29], s[6:7]
	v_cvt_f32_u32_e32 v1, s30
	v_cvt_f32_u32_e32 v2, s31
	s_sub_u32 s9, 0, s30
	s_subb_u32 s11, 0, s31
	v_madmk_f32 v1, v2, 0x4f800000, v1
	v_rcp_f32_e32 v1, v1
	v_mul_f32_e32 v1, 0x5f7ffffc, v1
	v_mul_f32_e32 v2, 0x2f800000, v1
	v_trunc_f32_e32 v2, v2
	v_madmk_f32 v1, v2, 0xcf800000, v1
	v_cvt_u32_f32_e32 v2, v2
	v_cvt_u32_f32_e32 v1, v1
	v_readfirstlane_b32 s33, v2
	v_readfirstlane_b32 s34, v1
	s_mul_i32 s35, s9, s33
	s_mul_hi_u32 s37, s9, s34
	s_mul_i32 s36, s11, s34
	s_add_i32 s35, s37, s35
	s_add_i32 s35, s35, s36
	s_mul_i32 s38, s9, s34
	s_mul_hi_u32 s36, s34, s35
	s_mul_i32 s37, s34, s35
	s_mul_hi_u32 s34, s34, s38
	s_add_u32 s34, s34, s37
	s_addc_u32 s36, 0, s36
	s_mul_hi_u32 s39, s33, s38
	s_mul_i32 s38, s33, s38
	s_add_u32 s34, s34, s38
	s_mul_hi_u32 s37, s33, s35
	s_addc_u32 s34, s36, s39
	s_addc_u32 s36, s37, 0
	s_mul_i32 s35, s33, s35
	s_add_u32 s34, s34, s35
	s_addc_u32 s35, 0, s36
	v_add_co_u32_e32 v1, vcc, s34, v1
	s_cmp_lg_u64 vcc, 0
	s_addc_u32 s33, s33, s35
	v_readfirstlane_b32 s35, v1
	s_mul_i32 s34, s9, s33
	s_mul_hi_u32 s36, s9, s35
	s_add_i32 s34, s36, s34
	s_mul_i32 s11, s11, s35
	s_add_i32 s34, s34, s11
	s_mul_i32 s9, s9, s35
	s_mul_hi_u32 s36, s33, s9
	s_mul_i32 s37, s33, s9
	s_mul_i32 s39, s35, s34
	s_mul_hi_u32 s9, s35, s9
	s_mul_hi_u32 s38, s35, s34
	s_add_u32 s9, s9, s39
	s_addc_u32 s35, 0, s38
	s_add_u32 s9, s9, s37
	s_mul_hi_u32 s11, s33, s34
	s_addc_u32 s9, s35, s36
	s_addc_u32 s11, s11, 0
	s_mul_i32 s34, s33, s34
	s_add_u32 s9, s9, s34
	s_addc_u32 s11, 0, s11
	v_add_co_u32_e32 v1, vcc, s9, v1
	s_cmp_lg_u64 vcc, 0
	s_addc_u32 s9, s33, s11
	s_lshr_b32 s9, s9, 26
	s_mul_i32 s11, s31, s9
	s_mul_hi_u32 s33, s30, s9
	s_add_i32 s33, s33, s11
	s_mul_i32 s34, s30, s9
	s_sub_i32 s11, 0, s33
	v_sub_co_u32_e64 v1, s[34:35], 64, s34
	s_cmp_lg_u64 s[34:35], 0
	s_subb_u32 s11, s11, s31
	v_subrev_co_u32_e32 v2, vcc, s30, v1
	s_cmp_lg_u64 vcc, 0
	s_subb_u32 s11, s11, 0
	s_cmp_ge_u32 s11, s31
	v_readfirstlane_b32 s37, v2
	s_cselect_b32 s36, -1, 0
	s_cmp_ge_u32 s37, s30
	s_cselect_b32 s37, -1, 0
	s_cmp_eq_u32 s11, s31
	s_cselect_b32 s11, s37, s36
	s_add_u32 s36, s9, 1
	s_addc_u32 s37, 0, 0
	s_add_u32 s38, s9, 2
	s_addc_u32 s39, 0, 0
	s_cmp_lg_u32 s11, 0
	s_cselect_b32 s11, s38, s36
	s_cselect_b32 s36, s39, s37
	s_cmp_lg_u64 s[34:35], 0
	s_subb_u32 s33, 0, s33
	s_cmp_ge_u32 s33, s31
	v_readfirstlane_b32 s35, v1
	s_cselect_b32 s34, -1, 0
	s_cmp_ge_u32 s35, s30
	s_cselect_b32 s30, -1, 0
	s_cmp_eq_u32 s33, s31
	s_cselect_b32 s30, s30, s34
	s_cmp_lg_u32 s30, 0
	s_cselect_b32 s31, s36, 0
	s_cselect_b32 s30, s11, s9
	s_xor_b64 s[30:31], s[30:31], s[6:7]
	s_sub_u32 s30, s30, s6
	s_subb_u32 s31, s31, s6
	s_cbranch_execnz .LBB20_6
.LBB20_5:
	v_cvt_f32_u32_e32 v1, s24
	s_sub_i32 s6, 0, s24
	s_mov_b32 s31, 0
	v_rcp_iflag_f32_e32 v1, v1
	v_mul_f32_e32 v1, 0x4f7ffffe, v1
	v_cvt_u32_f32_e32 v1, v1
	v_readfirstlane_b32 s7, v1
	s_mul_i32 s6, s6, s7
	s_mul_hi_u32 s6, s7, s6
	s_add_i32 s7, s7, s6
	s_lshr_b32 s6, s7, 26
	s_mul_i32 s9, s6, s24
	s_sub_i32 s9, 64, s9
	s_add_i32 s7, s6, 1
	s_sub_i32 s11, s9, s24
	s_cmp_ge_u32 s9, s24
	s_cselect_b32 s6, s7, s6
	s_cselect_b32 s9, s11, s9
	s_add_i32 s7, s6, 1
	s_cmp_ge_u32 s9, s24
	s_cselect_b32 s30, s7, s6
.LBB20_6:
	v_cmp_gt_i64_e64 s[6:7], s[30:31], 1
	s_and_b64 s[6:7], s[6:7], exec
	s_cselect_b32 s6, s30, 1
	s_abs_i32 s7, s24
	v_cvt_f32_u32_e32 v1, s7
	s_sub_i32 s9, 0, s7
	v_rcp_iflag_f32_e32 v2, v1
	v_and_b32_e32 v1, 0x3ff, v0
	v_bfe_u32 v0, v0, 10, 10
	v_add_u32_e32 v0, s8, v0
	v_mul_f32_e32 v2, 0x4f7ffffe, v2
	v_cvt_u32_f32_e32 v2, v2
	s_ashr_i32 s8, s24, 31
	v_mul_lo_u32 v3, s9, v2
	v_mul_hi_u32 v3, v2, v3
	v_add_u32_e32 v2, v2, v3
	v_mul_hi_u32 v2, v1, v2
	v_mul_lo_u32 v3, v2, s7
	v_sub_u32_e32 v3, v1, v3
	v_add_u32_e32 v4, 1, v2
	v_cmp_le_u32_e32 vcc, s7, v3
	v_cndmask_b32_e32 v2, v2, v4, vcc
	v_subrev_u32_e32 v4, s7, v3
	v_cndmask_b32_e32 v3, v3, v4, vcc
	v_add_u32_e32 v4, 1, v2
	v_cmp_le_u32_e32 vcc, s7, v3
	v_cndmask_b32_e32 v2, v2, v4, vcc
	v_xor_b32_e32 v2, s8, v2
	v_subrev_u32_e32 v2, s8, v2
	v_mad_u64_u32 v[6:7], s[6:7], v0, s6, v[2:3]
	v_mov_b32_e32 v7, 0
	v_cmp_gt_i64_e32 vcc, s[20:21], v[6:7]
	s_and_saveexec_b64 s[6:7], vcc
	s_cbranch_execz .LBB20_221
; %bb.7:
	v_mul_lo_u32 v0, v2, s24
	v_sub_u32_e32 v12, v1, v0
	s_cmp_gt_i32 s10, 0
	v_mul_lo_u32 v0, v12, s10
	s_cselect_b64 s[20:21], -1, 0
	s_cmp_lt_i32 s10, 1
	v_mov_b32_e32 v4, 0xff7fffff
	v_mov_b32_e32 v5, 0xff7fffff
	;; [unrolled: 1-line block ×3, first 2 shown]
	buffer_store_dword v7, off, s[0:3], 0 offset:124
	buffer_store_dword v7, off, s[0:3], 0 offset:120
	;; [unrolled: 1-line block ×31, first 2 shown]
	buffer_store_dword v7, off, s[0:3], 0
	buffer_store_dword v7, off, s[0:3], 0 offset:252
	buffer_store_dword v7, off, s[0:3], 0 offset:248
	;; [unrolled: 1-line block ×32, first 2 shown]
	s_cbranch_scc1 .LBB20_85
; %bb.8:
	v_mad_u64_u32 v[4:5], s[8:9], s22, v6, 0
	s_bfe_i64 s[6:7], s[22:23], 0x200000
	v_mov_b32_e32 v8, v5
	v_mad_u64_u32 v[8:9], s[6:7], s7, v6, v[8:9]
	s_cmp_lg_u32 s10, 1
	v_mov_b32_e32 v5, v8
	s_cselect_b64 s[28:29], -1, 0
	s_cmp_eq_u32 s10, 1
	v_ashrrev_i32_e32 v1, 31, v0
	s_cbranch_scc1 .LBB20_14
; %bb.9:
	v_lshlrev_b64 v[8:9], 1, v[4:5]
	v_mov_b32_e32 v3, s13
	v_add_co_u32_e32 v8, vcc, s12, v8
	v_addc_co_u32_e32 v3, vcc, v3, v9, vcc
	v_lshlrev_b64 v[10:11], 1, v[0:1]
	v_add_co_u32_e32 v8, vcc, v8, v10
	v_addc_co_u32_e32 v9, vcc, v3, v11, vcc
	v_mov_b32_e32 v3, s15
	v_add_co_u32_e32 v10, vcc, s14, v10
	s_and_b32 s8, s10, 0x7ffffffe
	v_addc_co_u32_e32 v11, vcc, v3, v11, vcc
	v_mov_b32_e32 v3, 0
	v_mov_b32_e32 v13, 0x80
	s_mov_b32 s6, s8
.LBB20_10:                              ; =>This Inner Loop Header: Depth=1
	global_load_dword v14, v[8:9], off
	global_load_dword v15, v[10:11], off
	v_add_co_u32_e32 v10, vcc, 4, v10
	v_addc_co_u32_e32 v11, vcc, 0, v11, vcc
	v_add_co_u32_e32 v8, vcc, 4, v8
	s_add_i32 s6, s6, -2
	v_addc_co_u32_e32 v9, vcc, 0, v9, vcc
	s_cmp_lg_u32 s6, 0
	s_waitcnt vmcnt(1)
	v_cvt_f32_f16_e32 v16, v14
	v_cvt_f32_f16_sdwa v14, v14 dst_sel:DWORD dst_unused:UNUSED_PAD src0_sel:WORD_1
	s_waitcnt vmcnt(0)
	v_cvt_f32_f16_e32 v17, v15
	v_cvt_f32_f16_sdwa v15, v15 dst_sel:DWORD dst_unused:UNUSED_PAD src0_sel:WORD_1
	buffer_store_dword v16, v3, s[0:3], 0 offen
	buffer_store_dword v14, v3, s[0:3], 0 offen offset:4
	buffer_store_dword v17, v13, s[0:3], 0 offen
	buffer_store_dword v15, v13, s[0:3], 0 offen offset:4
	v_add_u32_e32 v3, 8, v3
	v_add_u32_e32 v13, 8, v13
	s_cbranch_scc1 .LBB20_10
; %bb.11:
	s_cmp_lg_u32 s8, s10
	s_cselect_b64 s[6:7], -1, 0
	s_and_b64 vcc, exec, s[6:7]
	s_cbranch_vccnz .LBB20_15
	s_branch .LBB20_17
.LBB20_12:
                                        ; implicit-def: $sgpr10_sgpr11
	s_branch .LBB20_2
.LBB20_13:
                                        ; implicit-def: $sgpr30_sgpr31
	s_branch .LBB20_5
.LBB20_14:
	s_mov_b32 s8, 0
	s_cbranch_execz .LBB20_17
.LBB20_15:
	s_lshl_b32 s7, s8, 2
	v_mov_b32_e32 v3, 0x80
	v_mov_b32_e32 v8, 0
	s_sub_i32 s6, s10, s8
	v_add_u32_e32 v3, s7, v3
	v_add_u32_e32 v10, s7, v8
	v_lshlrev_b64 v[4:5], 1, v[4:5]
	v_lshlrev_b64 v[8:9], 1, v[0:1]
	s_lshl_b32 s7, s8, 1
	v_add_co_u32_e32 v1, vcc, v4, v8
	s_add_u32 s8, s12, s7
	v_addc_co_u32_e32 v5, vcc, v5, v9, vcc
	s_addc_u32 s9, s13, 0
	v_mov_b32_e32 v11, s9
	v_add_co_u32_e32 v4, vcc, s8, v1
	s_add_u32 s7, s14, s7
	v_addc_co_u32_e32 v5, vcc, v11, v5, vcc
	s_addc_u32 s8, s15, 0
	v_mov_b32_e32 v1, s8
	v_add_co_u32_e32 v8, vcc, s7, v8
	v_addc_co_u32_e32 v9, vcc, v1, v9, vcc
.LBB20_16:                              ; =>This Inner Loop Header: Depth=1
	global_load_ushort v1, v[4:5], off
	global_load_ushort v11, v[8:9], off
	v_add_co_u32_e32 v4, vcc, 2, v4
	v_addc_co_u32_e32 v5, vcc, 0, v5, vcc
	s_add_i32 s6, s6, -1
	v_add_co_u32_e32 v8, vcc, 2, v8
	v_addc_co_u32_e32 v9, vcc, 0, v9, vcc
	s_cmp_lg_u32 s6, 0
	s_waitcnt vmcnt(1)
	v_cvt_f32_f16_e32 v1, v1
	s_waitcnt vmcnt(0)
	v_cvt_f32_f16_e32 v11, v11
	buffer_store_dword v1, v10, s[0:3], 0 offen
	buffer_store_dword v11, v3, s[0:3], 0 offen
	v_add_u32_e32 v3, 4, v3
	v_add_u32_e32 v10, 4, v10
	s_cbranch_scc1 .LBB20_16
.LBB20_17:
	s_andn2_b64 vcc, exec, s[28:29]
	s_cbranch_vccnz .LBB20_25
; %bb.18:
	s_add_i32 s6, s10, -2
	s_lshr_b32 s11, s6, 1
	s_add_i32 s11, s11, 1
	s_cmp_lt_u32 s6, 6
	s_mov_b32 s12, 0
	s_cbranch_scc1 .LBB20_21
; %bb.19:
	s_and_b32 s13, s11, -4
	v_mov_b32_e32 v1, 0
	s_mov_b32 s14, 0xbfb8aa3b
	s_mov_b32 s15, 0x42ce8ed0
	;; [unrolled: 1-line block ×3, first 2 shown]
	v_mov_b32_e32 v3, 0x7f800000
.LBB20_20:                              ; =>This Inner Loop Header: Depth=1
	buffer_load_dword v13, v1, s[0:3], 0 offen offset:4
	buffer_load_dword v16, v1, s[0:3], 0 offen
	buffer_load_dword v17, v1, s[0:3], 0 offen offset:12
	buffer_load_dword v18, v1, s[0:3], 0 offen offset:8
	;; [unrolled: 1-line block ×6, first 2 shown]
	s_add_i32 s12, s12, 8
	s_add_i32 s13, s13, -4
	s_cmp_lg_u32 s13, 0
	s_waitcnt vmcnt(7)
	v_mul_f32_e32 v10, 0xbfb8aa3b, v13
	s_waitcnt vmcnt(6)
	v_mul_f32_e32 v11, 0xbfb8aa3b, v16
	v_rndne_f32_e32 v19, v10
	v_fma_f32 v20, v13, s14, -v10
	s_waitcnt vmcnt(5)
	v_mul_f32_e32 v14, 0xbfb8aa3b, v17
	v_rndne_f32_e32 v21, v11
	v_fma_f32 v22, v16, s14, -v11
	v_sub_f32_e32 v10, v10, v19
	v_fmac_f32_e32 v20, 0xb2a5705f, v13
	s_waitcnt vmcnt(4)
	v_mul_f32_e32 v15, 0xbfb8aa3b, v18
	v_rndne_f32_e32 v23, v14
	v_fma_f32 v24, v17, s14, -v14
	v_sub_f32_e32 v11, v11, v21
	v_fmac_f32_e32 v22, 0xb2a5705f, v16
	v_add_f32_e32 v10, v10, v20
	v_rndne_f32_e32 v25, v15
	v_fma_f32 v26, v18, s14, -v15
	v_cvt_i32_f32_e32 v19, v19
	v_sub_f32_e32 v14, v14, v23
	v_fmac_f32_e32 v24, 0xb2a5705f, v17
	v_add_f32_e32 v11, v11, v22
	v_exp_f32_e32 v10, v10
	v_cvt_i32_f32_e32 v21, v21
	v_sub_f32_e32 v15, v15, v25
	v_fmac_f32_e32 v26, 0xb2a5705f, v18
	v_add_f32_e32 v14, v14, v24
	v_exp_f32_e32 v11, v11
	v_cvt_i32_f32_e32 v23, v23
	v_add_f32_e32 v15, v15, v26
	v_exp_f32_e32 v14, v14
	v_cvt_i32_f32_e32 v25, v25
	v_exp_f32_e32 v15, v15
	v_ldexp_f32 v10, v10, v19
	v_cmp_nlt_f32_e32 vcc, s15, v13
	v_ldexp_f32 v11, v11, v21
	v_cndmask_b32_e32 v10, 0, v10, vcc
	v_cmp_nlt_f32_e32 vcc, s15, v16
	v_ldexp_f32 v14, v14, v23
	v_cndmask_b32_e32 v19, 0, v11, vcc
	;; [unrolled: 3-line block ×3, first 2 shown]
	v_cmp_nlt_f32_e32 vcc, s15, v18
	v_cndmask_b32_e32 v20, 0, v15, vcc
	v_cmp_ngt_f32_e32 vcc, s23, v13
	v_cndmask_b32_e32 v11, v3, v10, vcc
	v_cmp_ngt_f32_e32 vcc, s23, v16
	v_cndmask_b32_e32 v10, v3, v19, vcc
	v_pk_add_f32 v[10:11], v[10:11], 1.0 op_sel_hi:[1,0]
	v_div_scale_f32 v19, s[6:7], v10, v10, 1.0
	v_div_scale_f32 v21, s[6:7], v11, v11, 1.0
	v_rcp_f32_e32 v24, v19
	v_rcp_f32_e32 v25, v21
	v_cmp_ngt_f32_e32 vcc, s23, v17
	v_cndmask_b32_e32 v15, v3, v14, vcc
	v_cmp_ngt_f32_e32 vcc, s23, v18
	v_cndmask_b32_e32 v14, v3, v20, vcc
	v_fma_f32 v28, -v19, v24, 1.0
	v_pk_add_f32 v[14:15], v[14:15], 1.0 op_sel_hi:[1,0]
	v_div_scale_f32 v20, vcc, 1.0, v10, 1.0
	v_fma_f32 v29, -v21, v25, 1.0
	v_fmac_f32_e32 v24, v28, v24
	v_div_scale_f32 v22, s[6:7], 1.0, v11, 1.0
	v_div_scale_f32 v23, s[8:9], v14, v14, 1.0
	v_fmac_f32_e32 v25, v29, v25
	v_mul_f32_e32 v28, v20, v24
	v_rcp_f32_e32 v26, v23
	v_mul_f32_e32 v29, v22, v25
	v_fma_f32 v31, -v19, v28, v20
	v_fma_f32 v32, -v21, v29, v22
	v_fmac_f32_e32 v28, v31, v24
	v_fmac_f32_e32 v29, v32, v25
	v_fma_f32 v19, -v19, v28, v20
	v_fma_f32 v20, -v21, v29, v22
	v_div_fmas_f32 v19, v19, v24, v28
	s_mov_b64 vcc, s[6:7]
	v_fma_f32 v30, -v23, v26, 1.0
	v_div_fixup_f32 v10, v19, v10, 1.0
	v_div_fmas_f32 v19, v20, v25, v29
	v_cmp_o_f32_e32 vcc, v16, v16
	v_div_scale_f32 v27, s[8:9], 1.0, v14, 1.0
	v_fmac_f32_e32 v26, v30, v26
	v_div_fixup_f32 v11, v19, v11, 1.0
	v_cndmask_b32_e32 v10, 0, v10, vcc
	v_cmp_o_f32_e32 vcc, v13, v13
	v_mul_f32_e32 v30, v27, v26
	v_cndmask_b32_e32 v11, 0, v11, vcc
	buffer_store_dword v10, v1, s[0:3], 0 offen
	buffer_store_dword v11, v1, s[0:3], 0 offen offset:4
	v_div_scale_f32 v10, s[6:7], v15, v15, 1.0
	v_fma_f32 v33, -v23, v30, v27
	v_rcp_f32_e32 v11, v10
	v_fmac_f32_e32 v30, v33, v26
	v_fma_f32 v21, -v23, v30, v27
	s_mov_b64 vcc, s[8:9]
	v_div_fmas_f32 v13, v21, v26, v30
	v_div_fixup_f32 v13, v13, v14, 1.0
	v_fma_f32 v14, -v10, v11, 1.0
	v_fmac_f32_e32 v11, v14, v11
	v_div_scale_f32 v14, vcc, 1.0, v15, 1.0
	v_mul_f32_e32 v16, v14, v11
	v_fma_f32 v19, -v10, v16, v14
	v_fmac_f32_e32 v16, v19, v11
	v_fma_f32 v10, -v10, v16, v14
	v_div_fmas_f32 v10, v10, v11, v16
	s_waitcnt vmcnt(4)
	v_mul_f32_e32 v11, 0xbfb8aa3b, v9
	v_rndne_f32_e32 v14, v11
	v_sub_f32_e32 v16, v11, v14
	v_fma_f32 v11, v9, s14, -v11
	v_fmac_f32_e32 v11, 0xb2a5705f, v9
	v_add_f32_e32 v11, v16, v11
	v_exp_f32_e32 v11, v11
	v_cvt_i32_f32_e32 v14, v14
	v_div_fixup_f32 v10, v10, v15, 1.0
	v_cmp_o_f32_e32 vcc, v17, v17
	v_cndmask_b32_e32 v15, 0, v10, vcc
	v_ldexp_f32 v10, v11, v14
	v_mul_f32_e32 v11, 0xbfb8aa3b, v8
	v_rndne_f32_e32 v14, v11
	v_sub_f32_e32 v16, v11, v14
	v_fma_f32 v11, v8, s14, -v11
	v_fmac_f32_e32 v11, 0xb2a5705f, v8
	v_add_f32_e32 v11, v16, v11
	v_exp_f32_e32 v16, v11
	v_cvt_i32_f32_e32 v14, v14
	v_cmp_nlt_f32_e32 vcc, s15, v9
	v_cndmask_b32_e32 v10, 0, v10, vcc
	v_cmp_ngt_f32_e32 vcc, s23, v9
	v_cndmask_b32_e32 v11, v3, v10, vcc
	v_ldexp_f32 v10, v16, v14
	v_cmp_nlt_f32_e32 vcc, s15, v8
	v_cndmask_b32_e32 v10, 0, v10, vcc
	v_cmp_ngt_f32_e32 vcc, s23, v8
	v_cndmask_b32_e32 v10, v3, v10, vcc
	v_pk_add_f32 v[10:11], v[10:11], 1.0 op_sel_hi:[1,0]
	v_div_scale_f32 v14, s[6:7], v10, v10, 1.0
	v_rcp_f32_e32 v16, v14
	v_cmp_o_f32_e32 vcc, v18, v18
	v_cndmask_b32_e32 v13, 0, v13, vcc
	buffer_store_dword v13, v1, s[0:3], 0 offen offset:8
	buffer_store_dword v15, v1, s[0:3], 0 offen offset:12
	v_fma_f32 v13, -v14, v16, 1.0
	v_fmac_f32_e32 v16, v13, v16
	v_div_scale_f32 v13, vcc, 1.0, v10, 1.0
	v_mul_f32_e32 v15, v13, v16
	v_fma_f32 v17, -v14, v15, v13
	v_fmac_f32_e32 v15, v17, v16
	v_fma_f32 v13, -v14, v15, v13
	v_div_scale_f32 v14, s[6:7], v11, v11, 1.0
	v_rcp_f32_e32 v17, v14
	v_div_fmas_f32 v13, v13, v16, v15
	v_div_fixup_f32 v13, v13, v10, 1.0
	v_fma_f32 v10, -v14, v17, 1.0
	v_fmac_f32_e32 v17, v10, v17
	v_div_scale_f32 v10, vcc, 1.0, v11, 1.0
	v_mul_f32_e32 v15, v10, v17
	v_fma_f32 v16, -v14, v15, v10
	v_fmac_f32_e32 v15, v16, v17
	v_fma_f32 v10, -v14, v15, v10
	s_waitcnt vmcnt(4)
	v_mul_f32_e32 v14, 0xbfb8aa3b, v5
	v_div_fmas_f32 v10, v10, v17, v15
	v_rndne_f32_e32 v15, v14
	v_sub_f32_e32 v16, v14, v15
	v_fma_f32 v14, v5, s14, -v14
	v_fmac_f32_e32 v14, 0xb2a5705f, v5
	v_add_f32_e32 v14, v16, v14
	v_exp_f32_e32 v14, v14
	v_cvt_i32_f32_e32 v15, v15
	v_div_fixup_f32 v10, v10, v11, 1.0
	v_cmp_o_f32_e32 vcc, v9, v9
	v_mul_f32_e32 v11, 0xbfb8aa3b, v4
	v_cndmask_b32_e32 v9, 0, v10, vcc
	v_ldexp_f32 v10, v14, v15
	v_rndne_f32_e32 v14, v11
	v_sub_f32_e32 v15, v11, v14
	v_fma_f32 v11, v4, s14, -v11
	v_fmac_f32_e32 v11, 0xb2a5705f, v4
	v_add_f32_e32 v11, v15, v11
	v_exp_f32_e32 v15, v11
	v_cvt_i32_f32_e32 v14, v14
	v_cmp_nlt_f32_e32 vcc, s15, v5
	v_cndmask_b32_e32 v10, 0, v10, vcc
	v_cmp_ngt_f32_e32 vcc, s23, v5
	v_cndmask_b32_e32 v11, v3, v10, vcc
	v_ldexp_f32 v10, v15, v14
	v_cmp_nlt_f32_e32 vcc, s15, v4
	v_cndmask_b32_e32 v10, 0, v10, vcc
	v_cmp_ngt_f32_e32 vcc, s23, v4
	v_cndmask_b32_e32 v10, v3, v10, vcc
	v_pk_add_f32 v[10:11], v[10:11], 1.0 op_sel_hi:[1,0]
	v_div_scale_f32 v14, s[6:7], v10, v10, 1.0
	v_rcp_f32_e32 v15, v14
	v_cmp_o_f32_e32 vcc, v8, v8
	v_cndmask_b32_e32 v8, 0, v13, vcc
	buffer_store_dword v8, v1, s[0:3], 0 offen offset:16
	buffer_store_dword v9, v1, s[0:3], 0 offen offset:20
	v_fma_f32 v8, -v14, v15, 1.0
	v_fmac_f32_e32 v15, v8, v15
	v_div_scale_f32 v8, vcc, 1.0, v10, 1.0
	v_mul_f32_e32 v9, v8, v15
	v_fma_f32 v13, -v14, v9, v8
	v_fmac_f32_e32 v9, v13, v15
	v_div_scale_f32 v13, s[6:7], v11, v11, 1.0
	v_fma_f32 v8, -v14, v9, v8
	v_rcp_f32_e32 v14, v13
	v_div_fmas_f32 v8, v8, v15, v9
	v_div_fixup_f32 v8, v8, v10, 1.0
	v_fma_f32 v9, -v13, v14, 1.0
	v_fmac_f32_e32 v14, v9, v14
	v_div_scale_f32 v9, vcc, 1.0, v11, 1.0
	v_mul_f32_e32 v10, v9, v14
	v_fma_f32 v15, -v13, v10, v9
	v_fmac_f32_e32 v10, v15, v14
	v_fma_f32 v9, -v13, v10, v9
	v_div_fmas_f32 v9, v9, v14, v10
	v_div_fixup_f32 v9, v9, v11, 1.0
	v_cmp_o_f32_e32 vcc, v5, v5
	v_cndmask_b32_e32 v5, 0, v9, vcc
	v_cmp_o_f32_e32 vcc, v4, v4
	v_cndmask_b32_e32 v4, 0, v8, vcc
	buffer_store_dword v4, v1, s[0:3], 0 offen offset:24
	buffer_store_dword v5, v1, s[0:3], 0 offen offset:28
	v_add_u32_e32 v1, 32, v1
	s_cbranch_scc1 .LBB20_20
.LBB20_21:
	s_and_b32 s8, s11, 3
	s_cmp_eq_u32 s8, 0
	s_cbranch_scc1 .LBB20_24
; %bb.22:
	s_lshl_b32 s6, s12, 2
	v_mov_b32_e32 v1, 0
	v_add_u32_e32 v1, s6, v1
	s_mov_b32 s9, 0xbfb8aa3b
	s_mov_b32 s11, 0x42ce8ed0
	;; [unrolled: 1-line block ×3, first 2 shown]
	v_mov_b32_e32 v3, 0x7f800000
.LBB20_23:                              ; =>This Inner Loop Header: Depth=1
	buffer_load_dword v8, v1, s[0:3], 0 offen offset:4
	buffer_load_dword v9, v1, s[0:3], 0 offen
	s_add_i32 s8, s8, -1
	s_cmp_lg_u32 s8, 0
	s_waitcnt vmcnt(1)
	v_mul_f32_e32 v4, 0xbfb8aa3b, v8
	s_waitcnt vmcnt(0)
	v_mul_f32_e32 v5, 0xbfb8aa3b, v9
	v_rndne_f32_e32 v10, v4
	v_fma_f32 v11, v8, s9, -v4
	v_rndne_f32_e32 v13, v5
	v_fma_f32 v14, v9, s9, -v5
	v_sub_f32_e32 v4, v4, v10
	v_fmac_f32_e32 v11, 0xb2a5705f, v8
	v_sub_f32_e32 v5, v5, v13
	v_fmac_f32_e32 v14, 0xb2a5705f, v9
	v_add_f32_e32 v4, v4, v11
	v_cvt_i32_f32_e32 v10, v10
	v_add_f32_e32 v5, v5, v14
	v_exp_f32_e32 v4, v4
	v_cvt_i32_f32_e32 v13, v13
	v_exp_f32_e32 v5, v5
	v_cmp_nlt_f32_e32 vcc, s11, v8
	v_ldexp_f32 v4, v4, v10
	v_cndmask_b32_e32 v4, 0, v4, vcc
	v_ldexp_f32 v5, v5, v13
	v_cmp_nlt_f32_e32 vcc, s11, v9
	v_cndmask_b32_e32 v10, 0, v5, vcc
	v_cmp_ngt_f32_e32 vcc, s12, v8
	v_cndmask_b32_e32 v5, v3, v4, vcc
	v_cmp_ngt_f32_e32 vcc, s12, v9
	v_cndmask_b32_e32 v4, v3, v10, vcc
	v_pk_add_f32 v[4:5], v[4:5], 1.0 op_sel_hi:[1,0]
	v_div_scale_f32 v10, s[6:7], v4, v4, 1.0
	v_div_scale_f32 v13, s[6:7], v5, v5, 1.0
	v_rcp_f32_e32 v14, v10
	v_rcp_f32_e32 v15, v13
	v_div_scale_f32 v11, vcc, 1.0, v4, 1.0
	v_fma_f32 v17, -v10, v14, 1.0
	v_fma_f32 v18, -v13, v15, 1.0
	v_fmac_f32_e32 v14, v17, v14
	v_div_scale_f32 v16, s[6:7], 1.0, v5, 1.0
	v_fmac_f32_e32 v15, v18, v15
	v_mul_f32_e32 v17, v11, v14
	v_mul_f32_e32 v18, v16, v15
	v_fma_f32 v19, -v10, v17, v11
	v_fma_f32 v20, -v13, v18, v16
	v_fmac_f32_e32 v17, v19, v14
	v_fmac_f32_e32 v18, v20, v15
	v_fma_f32 v10, -v10, v17, v11
	v_fma_f32 v11, -v13, v18, v16
	v_div_fmas_f32 v10, v10, v14, v17
	s_mov_b64 vcc, s[6:7]
	v_div_fixup_f32 v4, v10, v4, 1.0
	v_div_fmas_f32 v10, v11, v15, v18
	v_cmp_o_f32_e32 vcc, v9, v9
	v_div_fixup_f32 v5, v10, v5, 1.0
	v_cndmask_b32_e32 v4, 0, v4, vcc
	v_cmp_o_f32_e32 vcc, v8, v8
	v_cndmask_b32_e32 v5, 0, v5, vcc
	buffer_store_dword v4, v1, s[0:3], 0 offen
	buffer_store_dword v5, v1, s[0:3], 0 offen offset:4
	v_add_u32_e32 v1, 8, v1
	s_cbranch_scc1 .LBB20_23
.LBB20_24:
	s_and_b32 s9, s10, 0x7ffffffe
	s_cmp_lg_u32 s9, s10
	s_cselect_b64 s[6:7], -1, 0
	s_and_b64 vcc, exec, s[6:7]
	s_cbranch_vccnz .LBB20_26
	s_branch .LBB20_30
.LBB20_25:
	s_mov_b32 s9, 0
	s_cbranch_execz .LBB20_30
.LBB20_26:
	s_lshl_b32 s6, s9, 2
	v_mov_b32_e32 v1, 0
	s_sub_i32 s8, s10, s9
	v_add_u32_e32 v1, s6, v1
	s_mov_b32 s9, 0xbfb8aa3b
	s_mov_b32 s11, 0x42ce8ed0
	;; [unrolled: 1-line block ×3, first 2 shown]
	v_mov_b32_e32 v3, 0x7f800000
	s_branch .LBB20_28
.LBB20_27:                              ;   in Loop: Header=BB20_28 Depth=1
	s_or_b64 exec, exec, s[6:7]
	s_add_i32 s8, s8, -1
	buffer_store_dword v5, v1, s[0:3], 0 offen
	s_cmp_lg_u32 s8, 0
	v_add_u32_e32 v1, 4, v1
	s_cbranch_scc0 .LBB20_30
.LBB20_28:                              ; =>This Inner Loop Header: Depth=1
	buffer_load_dword v4, v1, s[0:3], 0 offen
	v_mov_b32_e32 v5, 0
	s_waitcnt vmcnt(0)
	v_cmp_o_f32_e32 vcc, v4, v4
	s_and_saveexec_b64 s[6:7], vcc
	s_cbranch_execz .LBB20_27
; %bb.29:                               ;   in Loop: Header=BB20_28 Depth=1
	v_mul_f32_e32 v5, 0xbfb8aa3b, v4
	v_rndne_f32_e32 v8, v5
	v_sub_f32_e32 v9, v5, v8
	v_fma_f32 v5, v4, s9, -v5
	v_fmac_f32_e32 v5, 0xb2a5705f, v4
	v_add_f32_e32 v5, v9, v5
	v_cvt_i32_f32_e32 v8, v8
	v_exp_f32_e32 v5, v5
	v_cmp_nlt_f32_e32 vcc, s11, v4
	v_ldexp_f32 v5, v5, v8
	v_cndmask_b32_e32 v5, 0, v5, vcc
	v_cmp_ngt_f32_e32 vcc, s12, v4
	v_cndmask_b32_e32 v4, v3, v5, vcc
	v_add_f32_e32 v4, 1.0, v4
	v_div_scale_f32 v5, s[14:15], v4, v4, 1.0
	v_rcp_f32_e32 v8, v5
	v_fma_f32 v9, -v5, v8, 1.0
	v_fmac_f32_e32 v8, v9, v8
	v_div_scale_f32 v9, vcc, 1.0, v4, 1.0
	v_mul_f32_e32 v10, v9, v8
	v_fma_f32 v11, -v5, v10, v9
	v_fmac_f32_e32 v10, v11, v8
	v_fma_f32 v5, -v5, v10, v9
	v_div_fmas_f32 v5, v5, v8, v10
	v_div_fixup_f32 v5, v5, v4, 1.0
	s_branch .LBB20_27
.LBB20_30:
	s_and_b64 vcc, exec, s[28:29]
	s_cbranch_vccz .LBB20_38
; %bb.31:
	s_add_i32 s7, s10, -2
	s_lshr_b32 s6, s7, 1
	s_add_i32 s6, s6, 1
	s_cmp_lt_u32 s7, 14
	s_mov_b32 s7, 0
	s_cbranch_scc1 .LBB20_34
; %bb.32:
	s_and_b32 s8, s6, -8
	v_mov_b32_e32 v1, 0
	v_mov_b32_e32 v3, 0x80
.LBB20_33:                              ; =>This Inner Loop Header: Depth=1
	buffer_load_dword v4, v1, s[0:3], 0 offen
	buffer_load_dword v5, v1, s[0:3], 0 offen offset:4
	buffer_load_dword v8, v1, s[0:3], 0 offen offset:8
	;; [unrolled: 1-line block ×7, first 2 shown]
	buffer_load_dword v16, v3, s[0:3], 0 offen
	buffer_load_dword v17, v3, s[0:3], 0 offen offset:4
	buffer_load_dword v18, v3, s[0:3], 0 offen offset:8
	;; [unrolled: 1-line block ×23, first 2 shown]
	s_add_i32 s7, s7, 16
	s_add_i32 s8, s8, -8
	v_add_u32_e32 v1, 64, v1
	s_cmp_lg_u32 s8, 0
	s_waitcnt vmcnt(22)
	v_pk_add_f32 v[4:5], v[4:5], v[16:17]
	s_waitcnt vmcnt(20)
	v_pk_add_f32 v[8:9], v[8:9], v[18:19]
	;; [unrolled: 2-line block ×8, first 2 shown]
	buffer_store_dword v4, v3, s[0:3], 0 offen
	buffer_store_dword v5, v3, s[0:3], 0 offen offset:4
	buffer_store_dword v8, v3, s[0:3], 0 offen offset:8
	;; [unrolled: 1-line block ×15, first 2 shown]
	v_add_u32_e32 v3, 64, v3
	s_cbranch_scc1 .LBB20_33
.LBB20_34:
	s_and_b32 s6, s6, 7
	s_cmp_eq_u32 s6, 0
	s_cbranch_scc1 .LBB20_37
; %bb.35:
	s_lshl_b32 s7, s7, 2
	v_mov_b32_e32 v1, 0x80
	v_mov_b32_e32 v3, 0
	v_add_u32_e32 v1, s7, v1
	v_add_u32_e32 v3, s7, v3
.LBB20_36:                              ; =>This Inner Loop Header: Depth=1
	buffer_load_dword v4, v3, s[0:3], 0 offen
	buffer_load_dword v5, v3, s[0:3], 0 offen offset:4
	buffer_load_dword v8, v1, s[0:3], 0 offen
	buffer_load_dword v9, v1, s[0:3], 0 offen offset:4
	s_add_i32 s6, s6, -1
	s_cmp_lg_u32 s6, 0
	v_add_u32_e32 v3, 8, v3
	s_waitcnt vmcnt(0)
	v_pk_add_f32 v[4:5], v[4:5], v[8:9]
	buffer_store_dword v4, v1, s[0:3], 0 offen
	buffer_store_dword v5, v1, s[0:3], 0 offen offset:4
	v_add_u32_e32 v1, 8, v1
	s_cbranch_scc1 .LBB20_36
.LBB20_37:
	s_and_b32 s8, s10, 0x7ffffffe
	s_cmp_lg_u32 s8, s10
	s_cselect_b64 s[6:7], -1, 0
	s_and_b64 vcc, exec, s[6:7]
	s_cbranch_vccnz .LBB20_39
	s_branch .LBB20_41
.LBB20_38:
	s_mov_b32 s8, 0
	s_cbranch_execz .LBB20_41
.LBB20_39:
	s_lshl_b32 s7, s8, 2
	v_mov_b32_e32 v1, 0x80
	v_mov_b32_e32 v3, 0
	s_sub_i32 s6, s10, s8
	v_add_u32_e32 v1, s7, v1
	v_add_u32_e32 v3, s7, v3
.LBB20_40:                              ; =>This Inner Loop Header: Depth=1
	buffer_load_dword v4, v3, s[0:3], 0 offen
	buffer_load_dword v5, v1, s[0:3], 0 offen
	s_add_i32 s6, s6, -1
	s_cmp_eq_u32 s6, 0
	v_add_u32_e32 v3, 4, v3
	s_waitcnt vmcnt(0)
	v_add_f32_e32 v4, v4, v5
	buffer_store_dword v4, v1, s[0:3], 0 offen
	v_add_u32_e32 v1, 4, v1
	s_cbranch_scc0 .LBB20_40
.LBB20_41:
	s_add_i32 s6, s10, -1
	s_cmp_lt_u32 s6, 7
	v_mov_b32_e32 v5, 0xff7fffff
	s_cbranch_scc1 .LBB20_76
; %bb.42:
	s_and_b32 s11, s10, 0x7ffffff8
	v_mov_b32_e32 v1, 0x80
	s_mov_b32 s12, 0
	v_mov_b32_e32 v4, 0xff7fffff
	v_mov_b32_e32 v5, 0xff7fffff
	s_branch .LBB20_45
.LBB20_43:                              ;   in Loop: Header=BB20_45 Depth=1
	s_or_b64 exec, exec, s[8:9]
	v_mov_b32_e32 v5, v8
	v_mov_b32_e32 v4, v3
.LBB20_44:                              ;   in Loop: Header=BB20_45 Depth=1
	s_or_b64 exec, exec, s[6:7]
	s_add_i32 s12, s12, 8
	s_cmp_eq_u32 s11, s12
	v_add_u32_e32 v1, 32, v1
	s_cbranch_scc1 .LBB20_77
.LBB20_45:                              ; =>This Inner Loop Header: Depth=1
	buffer_load_dword v3, v1, s[0:3], 0 offen
	v_mov_b32_e32 v8, v4
	s_waitcnt vmcnt(0)
	v_cmp_ngt_f32_e32 vcc, v3, v4
	s_and_saveexec_b64 s[6:7], vcc
	s_cbranch_execz .LBB20_49
; %bb.46:                               ;   in Loop: Header=BB20_45 Depth=1
	v_cmp_gt_f32_e32 vcc, v3, v5
	s_and_saveexec_b64 s[8:9], vcc
; %bb.47:                               ;   in Loop: Header=BB20_45 Depth=1
	v_mov_b32_e32 v5, v3
; %bb.48:                               ;   in Loop: Header=BB20_45 Depth=1
	s_or_b64 exec, exec, s[8:9]
	v_mov_b32_e32 v8, v5
	v_mov_b32_e32 v3, v4
.LBB20_49:                              ;   in Loop: Header=BB20_45 Depth=1
	s_or_b64 exec, exec, s[6:7]
	buffer_load_dword v4, v1, s[0:3], 0 offen offset:4
	v_mov_b32_e32 v5, v3
	s_waitcnt vmcnt(0)
	v_cmp_ngt_f32_e32 vcc, v4, v3
	s_and_saveexec_b64 s[6:7], vcc
	s_cbranch_execz .LBB20_53
; %bb.50:                               ;   in Loop: Header=BB20_45 Depth=1
	v_cmp_gt_f32_e32 vcc, v4, v8
	s_and_saveexec_b64 s[8:9], vcc
; %bb.51:                               ;   in Loop: Header=BB20_45 Depth=1
	v_mov_b32_e32 v8, v4
; %bb.52:                               ;   in Loop: Header=BB20_45 Depth=1
	s_or_b64 exec, exec, s[8:9]
	v_mov_b32_e32 v5, v8
	v_mov_b32_e32 v4, v3
.LBB20_53:                              ;   in Loop: Header=BB20_45 Depth=1
	s_or_b64 exec, exec, s[6:7]
	buffer_load_dword v3, v1, s[0:3], 0 offen offset:8
	;; [unrolled: 17-line block ×7, first 2 shown]
	v_mov_b32_e32 v5, v3
	s_waitcnt vmcnt(0)
	v_cmp_ngt_f32_e32 vcc, v4, v3
	s_and_saveexec_b64 s[6:7], vcc
	s_cbranch_execz .LBB20_44
; %bb.74:                               ;   in Loop: Header=BB20_45 Depth=1
	v_cmp_gt_f32_e32 vcc, v4, v8
	s_and_saveexec_b64 s[8:9], vcc
	s_cbranch_execz .LBB20_43
; %bb.75:                               ;   in Loop: Header=BB20_45 Depth=1
	v_mov_b32_e32 v8, v4
	s_branch .LBB20_43
.LBB20_76:
	s_mov_b32 s11, 0
	v_mov_b32_e32 v4, 0xff7fffff
.LBB20_77:
	s_and_b32 s12, s10, 7
	s_cmp_eq_u32 s12, 0
	s_cbranch_scc1 .LBB20_84
; %bb.78:
	s_lshl_b32 s6, s11, 2
	v_mov_b32_e32 v1, 0x80
	v_add_u32_e32 v1, s6, v1
	s_branch .LBB20_81
.LBB20_79:                              ;   in Loop: Header=BB20_81 Depth=1
	s_or_b64 exec, exec, s[8:9]
	v_mov_b32_e32 v8, v5
	v_mov_b32_e32 v3, v4
.LBB20_80:                              ;   in Loop: Header=BB20_81 Depth=1
	s_or_b64 exec, exec, s[6:7]
	s_add_i32 s12, s12, -1
	s_cmp_lg_u32 s12, 0
	v_add_u32_e32 v1, 4, v1
	v_mov_b32_e32 v4, v3
	v_mov_b32_e32 v5, v8
	s_cbranch_scc0 .LBB20_84
.LBB20_81:                              ; =>This Inner Loop Header: Depth=1
	buffer_load_dword v3, v1, s[0:3], 0 offen
	v_mov_b32_e32 v8, v4
	s_waitcnt vmcnt(0)
	v_cmp_ngt_f32_e32 vcc, v3, v4
	s_and_saveexec_b64 s[6:7], vcc
	s_cbranch_execz .LBB20_80
; %bb.82:                               ;   in Loop: Header=BB20_81 Depth=1
	v_cmp_gt_f32_e32 vcc, v3, v5
	s_and_saveexec_b64 s[8:9], vcc
	s_cbranch_execz .LBB20_79
; %bb.83:                               ;   in Loop: Header=BB20_81 Depth=1
	v_mov_b32_e32 v5, v3
	s_branch .LBB20_79
.LBB20_84:
	buffer_load_dword v1, off, s[0:3], 0 offset:128
.LBB20_85:
	s_bfe_i64 s[6:7], s[24:25], 0x200000
	s_sub_u32 s12, s6, s26
	s_subb_u32 s13, s7, s27
	v_cmp_lt_i64_e64 s[6:7], s[12:13], 1
	s_and_b64 vcc, exec, s[6:7]
	v_mbcnt_lo_u32_b32 v3, -1, 0
	s_cbranch_vccnz .LBB20_123
; %bb.86:
	s_abs_i32 s11, s10
	v_cvt_f32_u32_e32 v8, s11
	v_add_f32_e32 v4, v5, v4
	v_bfrev_b32_e32 v9, 0.5
	s_sub_i32 s6, 0, s11
	v_rcp_iflag_f32_e32 v5, v8
	v_mbcnt_hi_u32_b32 v8, -1, v3
	v_mov_b32_e32 v10, 0x7c
	s_ashr_i32 s23, s10, 31
	v_mul_f32_e32 v5, 0x4f7ffffe, v5
	v_cvt_u32_f32_e32 v11, v5
	v_lshl_or_b32 v5, v8, 2, v9
	s_mov_b64 s[14:15], 0
	v_lshl_or_b32 v8, v8, 2, v10
	v_mul_lo_u32 v9, s6, v11
	v_mul_hi_u32 v9, v11, v9
	v_add_u32_e32 v9, v11, v9
	v_mov_b32_e32 v10, 0x7f7fffff
	s_branch .LBB20_89
.LBB20_87:                              ;   in Loop: Header=BB20_89 Depth=1
	s_or_b64 exec, exec, s[6:7]
.LBB20_88:                              ;   in Loop: Header=BB20_89 Depth=1
	s_waitcnt lgkmcnt(0)
	v_sub_u32_e32 v14, 0, v11
	v_ashrrev_i32_e32 v13, 31, v11
	v_max_i32_e32 v11, v11, v14
	v_mul_hi_u32 v14, v11, v9
	v_mul_lo_u32 v15, v14, s11
	v_sub_u32_e32 v11, v11, v15
	v_add_u32_e32 v15, 1, v14
	v_cmp_le_u32_e32 vcc, s11, v11
	v_cndmask_b32_e32 v14, v14, v15, vcc
	v_subrev_u32_e32 v15, s11, v11
	v_cndmask_b32_e32 v11, v11, v15, vcc
	v_add_u32_e32 v15, 1, v14
	v_cmp_le_u32_e32 vcc, s11, v11
	v_xor_b32_e32 v13, s23, v13
	v_cndmask_b32_e32 v11, v14, v15, vcc
	v_xor_b32_e32 v11, v11, v13
	s_add_u32 s14, s14, 1
	v_sub_u32_e32 v11, v11, v13
	s_addc_u32 s15, s15, 0
	v_cmp_eq_u32_e32 vcc, v12, v11
	v_pk_mov_b32 v[14:15], s[14:15], s[14:15] op_sel:[0,1]
	s_waitcnt vmcnt(0)
	v_cndmask_b32_e32 v1, v1, v10, vcc
	v_cndmask_b32_e32 v4, v4, v10, vcc
	v_cmp_le_u64_e32 vcc, s[12:13], v[14:15]
	s_cbranch_vccnz .LBB20_123
.LBB20_89:                              ; =>This Inner Loop Header: Depth=1
	s_cmp_lt_i32 s24, 16
	s_cbranch_scc1 .LBB20_95
; %bb.90:                               ;   in Loop: Header=BB20_89 Depth=1
	s_cmp_lt_i32 s24, 32
	s_cbranch_scc1 .LBB20_96
; %bb.91:                               ;   in Loop: Header=BB20_89 Depth=1
	;; [unrolled: 3-line block ×3, first 2 shown]
	s_cmp_eq_u32 s24, 64
	v_mov_b32_e32 v11, v0
	s_cbranch_scc0 .LBB20_94
; %bb.93:                               ;   in Loop: Header=BB20_89 Depth=1
	s_nop 0
	v_mov_b32_dpp v11, v0 quad_perm:[1,0,3,2] row_mask:0xf bank_mask:0xf
	v_mov_b32_dpp v13, v4 quad_perm:[1,0,3,2] row_mask:0xf bank_mask:0xf
	v_cmp_eq_f32_e64 s[6:7], v4, v13
	v_cmp_lt_i32_e64 s[8:9], v0, v11
	v_cmp_lt_f32_e32 vcc, v4, v13
	s_and_b64 s[6:7], s[6:7], s[8:9]
	s_or_b64 vcc, vcc, s[6:7]
	v_cndmask_b32_e32 v13, v13, v4, vcc
	v_cndmask_b32_e32 v11, v11, v0, vcc
	s_nop 0
	v_mov_b32_dpp v15, v13 quad_perm:[2,3,0,1] row_mask:0xf bank_mask:0xf
	v_mov_b32_dpp v14, v11 quad_perm:[2,3,0,1] row_mask:0xf bank_mask:0xf
	v_cmp_eq_f32_e32 vcc, v13, v15
	v_cmp_lt_i32_e64 s[6:7], v11, v14
	s_and_b64 vcc, vcc, s[6:7]
	v_cmp_lt_f32_e64 s[6:7], v13, v15
	v_cndmask_b32_e32 v16, v15, v13, vcc
	s_or_b64 vcc, s[6:7], vcc
	v_cndmask_b32_e64 v13, v16, v13, s[6:7]
	v_cndmask_b32_e32 v11, v14, v11, vcc
	s_nop 0
	v_mov_b32_dpp v15, v13 row_ror:4 row_mask:0xf bank_mask:0xf
	v_mov_b32_dpp v14, v11 row_ror:4 row_mask:0xf bank_mask:0xf
	v_cmp_eq_f32_e32 vcc, v13, v15
	v_cmp_lt_i32_e64 s[6:7], v11, v14
	s_and_b64 vcc, vcc, s[6:7]
	v_cmp_lt_f32_e64 s[6:7], v13, v15
	v_cndmask_b32_e32 v16, v15, v13, vcc
	s_or_b64 vcc, s[6:7], vcc
	v_cndmask_b32_e64 v13, v16, v13, s[6:7]
	v_cndmask_b32_e32 v11, v14, v11, vcc
	s_nop 0
	v_mov_b32_dpp v15, v13 row_ror:8 row_mask:0xf bank_mask:0xf
	v_mov_b32_dpp v14, v11 row_ror:8 row_mask:0xf bank_mask:0xf
	v_cmp_eq_f32_e32 vcc, v13, v15
	v_cmp_lt_i32_e64 s[6:7], v11, v14
	s_and_b64 vcc, vcc, s[6:7]
	v_cmp_lt_f32_e64 s[6:7], v13, v15
	v_cndmask_b32_e32 v16, v15, v13, vcc
	s_or_b64 vcc, s[6:7], vcc
	v_cndmask_b32_e64 v13, v16, v13, s[6:7]
	v_cndmask_b32_e32 v11, v14, v11, vcc
	s_nop 0
	v_mov_b32_dpp v15, v13 row_bcast:15 row_mask:0xf bank_mask:0xf
	v_mov_b32_dpp v14, v11 row_bcast:15 row_mask:0xf bank_mask:0xf
	v_cmp_eq_f32_e32 vcc, v13, v15
	v_cmp_lt_i32_e64 s[6:7], v11, v14
	s_and_b64 vcc, vcc, s[6:7]
	v_cmp_lt_f32_e64 s[6:7], v13, v15
	v_cndmask_b32_e32 v16, v15, v13, vcc
	s_or_b64 vcc, s[6:7], vcc
	v_cndmask_b32_e64 v13, v16, v13, s[6:7]
	v_cndmask_b32_e32 v11, v14, v11, vcc
	s_nop 0
	v_mov_b32_dpp v15, v13 row_bcast:31 row_mask:0xf bank_mask:0xf
	v_mov_b32_dpp v14, v11 row_bcast:31 row_mask:0xf bank_mask:0xf
	v_min_i32_e32 v16, v11, v14
	v_cmp_eq_f32_e32 vcc, v13, v15
	v_cndmask_b32_e32 v14, v14, v16, vcc
	v_cmp_lt_f32_e32 vcc, v13, v15
	v_cndmask_b32_e32 v11, v14, v11, vcc
	ds_bpermute_b32 v11, v5, v11
.LBB20_94:                              ;   in Loop: Header=BB20_89 Depth=1
	s_cbranch_execz .LBB20_98
	s_branch .LBB20_100
.LBB20_95:                              ;   in Loop: Header=BB20_89 Depth=1
                                        ; implicit-def: $vgpr11
	s_branch .LBB20_106
.LBB20_96:                              ;   in Loop: Header=BB20_89 Depth=1
                                        ; implicit-def: $vgpr11
	s_branch .LBB20_101
.LBB20_97:                              ;   in Loop: Header=BB20_89 Depth=1
                                        ; implicit-def: $vgpr11
.LBB20_98:                              ;   in Loop: Header=BB20_89 Depth=1
	s_cmp_eq_u32 s24, 32
	s_waitcnt lgkmcnt(0)
	v_mov_b32_e32 v11, v0
	s_cbranch_scc0 .LBB20_100
; %bb.99:                               ;   in Loop: Header=BB20_89 Depth=1
	s_nop 0
	v_mov_b32_dpp v11, v0 quad_perm:[1,0,3,2] row_mask:0xf bank_mask:0xf
	v_mov_b32_dpp v13, v4 quad_perm:[1,0,3,2] row_mask:0xf bank_mask:0xf
	v_cmp_eq_f32_e64 s[6:7], v4, v13
	v_cmp_lt_i32_e64 s[8:9], v0, v11
	v_cmp_lt_f32_e32 vcc, v4, v13
	s_and_b64 s[6:7], s[6:7], s[8:9]
	s_or_b64 vcc, vcc, s[6:7]
	v_cndmask_b32_e32 v13, v13, v4, vcc
	v_cndmask_b32_e32 v11, v11, v0, vcc
	s_nop 0
	v_mov_b32_dpp v15, v13 quad_perm:[2,3,0,1] row_mask:0xf bank_mask:0xf
	v_mov_b32_dpp v14, v11 quad_perm:[2,3,0,1] row_mask:0xf bank_mask:0xf
	v_cmp_eq_f32_e32 vcc, v13, v15
	v_cmp_lt_i32_e64 s[6:7], v11, v14
	s_and_b64 vcc, vcc, s[6:7]
	v_cmp_lt_f32_e64 s[6:7], v13, v15
	v_cndmask_b32_e32 v16, v15, v13, vcc
	s_or_b64 vcc, s[6:7], vcc
	v_cndmask_b32_e64 v13, v16, v13, s[6:7]
	v_cndmask_b32_e32 v11, v14, v11, vcc
	s_nop 0
	v_mov_b32_dpp v15, v13 row_half_mirror row_mask:0xf bank_mask:0xf
	v_mov_b32_dpp v14, v11 row_half_mirror row_mask:0xf bank_mask:0xf
	v_cmp_eq_f32_e32 vcc, v13, v15
	v_cmp_lt_i32_e64 s[6:7], v11, v14
	s_and_b64 vcc, vcc, s[6:7]
	v_cmp_lt_f32_e64 s[6:7], v13, v15
	v_cndmask_b32_e32 v16, v15, v13, vcc
	s_or_b64 vcc, s[6:7], vcc
	v_cndmask_b32_e64 v13, v16, v13, s[6:7]
	v_cndmask_b32_e32 v11, v14, v11, vcc
	s_nop 0
	v_mov_b32_dpp v15, v13 row_mirror row_mask:0xf bank_mask:0xf
	v_mov_b32_dpp v14, v11 row_mirror row_mask:0xf bank_mask:0xf
	v_cmp_eq_f32_e32 vcc, v13, v15
	v_cmp_lt_i32_e64 s[6:7], v11, v14
	s_and_b64 vcc, vcc, s[6:7]
	v_cmp_lt_f32_e64 s[6:7], v13, v15
	v_cndmask_b32_e32 v16, v15, v13, vcc
	s_or_b64 vcc, s[6:7], vcc
	v_cndmask_b32_e64 v13, v16, v13, s[6:7]
	v_cndmask_b32_e32 v11, v14, v11, vcc
	s_nop 0
	v_mov_b32_dpp v15, v13 row_bcast:15 row_mask:0xa bank_mask:0xf
	v_mov_b32_dpp v14, v11 row_bcast:15 row_mask:0xa bank_mask:0xf
	v_min_i32_e32 v16, v11, v14
	v_cmp_eq_f32_e32 vcc, v13, v15
	v_cndmask_b32_e32 v14, v14, v16, vcc
	v_cmp_lt_f32_e32 vcc, v13, v15
	v_cndmask_b32_e32 v11, v14, v11, vcc
	ds_bpermute_b32 v11, v8, v11
.LBB20_100:                             ;   in Loop: Header=BB20_89 Depth=1
	s_cbranch_execnz .LBB20_105
.LBB20_101:                             ;   in Loop: Header=BB20_89 Depth=1
	s_cmp_eq_u32 s24, 16
	s_waitcnt lgkmcnt(0)
	v_mov_b32_e32 v11, v0
	s_cbranch_scc0 .LBB20_105
; %bb.102:                              ;   in Loop: Header=BB20_89 Depth=1
	s_nop 0
	v_mov_b32_dpp v11, v0 quad_perm:[1,0,3,2] row_mask:0xf bank_mask:0xf
	v_mov_b32_dpp v13, v4 quad_perm:[1,0,3,2] row_mask:0xf bank_mask:0xf
	v_cmp_eq_f32_e64 s[6:7], v4, v13
	v_cmp_lt_i32_e64 s[8:9], v0, v11
	v_cmp_lt_f32_e32 vcc, v4, v13
	s_and_b64 s[6:7], s[6:7], s[8:9]
	s_or_b64 vcc, vcc, s[6:7]
	v_cndmask_b32_e32 v13, v13, v4, vcc
	v_cndmask_b32_e32 v11, v11, v0, vcc
	s_nop 0
	v_mov_b32_dpp v15, v13 quad_perm:[2,3,0,1] row_mask:0xf bank_mask:0xf
	v_mov_b32_dpp v14, v11 quad_perm:[2,3,0,1] row_mask:0xf bank_mask:0xf
	v_cmp_eq_f32_e32 vcc, v13, v15
	v_cmp_lt_i32_e64 s[6:7], v11, v14
	s_and_b64 vcc, vcc, s[6:7]
	v_cmp_lt_f32_e64 s[6:7], v13, v15
	v_cndmask_b32_e32 v16, v15, v13, vcc
	s_or_b64 vcc, s[6:7], vcc
	v_cndmask_b32_e64 v13, v16, v13, s[6:7]
	v_cndmask_b32_e32 v11, v14, v11, vcc
	s_nop 0
	v_mov_b32_dpp v15, v13 row_half_mirror row_mask:0xf bank_mask:0xf
	v_mov_b32_dpp v14, v11 row_half_mirror row_mask:0xf bank_mask:0xf
	v_cmp_eq_f32_e32 vcc, v13, v15
	v_cmp_lt_i32_e64 s[6:7], v11, v14
	s_and_b64 vcc, vcc, s[6:7]
	v_cndmask_b32_e32 v16, v15, v13, vcc
	v_cmp_lt_f32_e64 s[6:7], v13, v15
	v_cndmask_b32_e64 v13, v16, v13, s[6:7]
	s_or_b64 vcc, s[6:7], vcc
	v_cndmask_b32_e32 v11, v14, v11, vcc
	v_mov_b32_dpp v15, v13 row_mirror row_mask:0xf bank_mask:0xf
	v_cmp_nlt_f32_e32 vcc, v13, v15
	v_mov_b32_dpp v14, v11 row_mirror row_mask:0xf bank_mask:0xf
	s_and_saveexec_b64 s[6:7], vcc
; %bb.103:                              ;   in Loop: Header=BB20_89 Depth=1
	v_min_i32_e32 v11, v11, v14
	v_cmp_eq_f32_e32 vcc, v13, v15
	v_cndmask_b32_e32 v11, v14, v11, vcc
; %bb.104:                              ;   in Loop: Header=BB20_89 Depth=1
	s_or_b64 exec, exec, s[6:7]
.LBB20_105:                             ;   in Loop: Header=BB20_89 Depth=1
	s_cbranch_execnz .LBB20_88
.LBB20_106:                             ;   in Loop: Header=BB20_89 Depth=1
	s_cmp_lt_i32 s24, 4
	s_cbranch_scc1 .LBB20_113
; %bb.107:                              ;   in Loop: Header=BB20_89 Depth=1
	s_cmp_lt_i32 s24, 8
	s_cbranch_scc1 .LBB20_114
; %bb.108:                              ;   in Loop: Header=BB20_89 Depth=1
	s_cmp_eq_u32 s24, 8
	s_waitcnt lgkmcnt(0)
	v_mov_b32_e32 v11, v0
	s_cbranch_scc0 .LBB20_112
; %bb.109:                              ;   in Loop: Header=BB20_89 Depth=1
	s_nop 0
	v_mov_b32_dpp v11, v0 quad_perm:[1,0,3,2] row_mask:0xf bank_mask:0xf
	v_mov_b32_dpp v13, v4 quad_perm:[1,0,3,2] row_mask:0xf bank_mask:0xf
	v_cmp_eq_f32_e64 s[6:7], v4, v13
	v_cmp_lt_i32_e64 s[8:9], v0, v11
	v_cmp_lt_f32_e32 vcc, v4, v13
	s_and_b64 s[6:7], s[6:7], s[8:9]
	s_or_b64 vcc, vcc, s[6:7]
	v_cndmask_b32_e32 v13, v13, v4, vcc
	v_cndmask_b32_e32 v11, v11, v0, vcc
	s_nop 0
	v_mov_b32_dpp v15, v13 quad_perm:[2,3,0,1] row_mask:0xf bank_mask:0xf
	v_mov_b32_dpp v14, v11 quad_perm:[2,3,0,1] row_mask:0xf bank_mask:0xf
	v_cmp_eq_f32_e32 vcc, v13, v15
	v_cmp_lt_i32_e64 s[6:7], v11, v14
	s_and_b64 vcc, vcc, s[6:7]
	v_cndmask_b32_e32 v16, v15, v13, vcc
	v_cmp_lt_f32_e64 s[6:7], v13, v15
	v_cndmask_b32_e64 v13, v16, v13, s[6:7]
	s_or_b64 vcc, s[6:7], vcc
	v_cndmask_b32_e32 v11, v14, v11, vcc
	v_mov_b32_dpp v15, v13 row_half_mirror row_mask:0xf bank_mask:0xf
	v_cmp_nlt_f32_e32 vcc, v13, v15
	v_mov_b32_dpp v14, v11 row_half_mirror row_mask:0xf bank_mask:0xf
	s_and_saveexec_b64 s[6:7], vcc
; %bb.110:                              ;   in Loop: Header=BB20_89 Depth=1
	v_min_i32_e32 v11, v11, v14
	v_cmp_eq_f32_e32 vcc, v13, v15
	v_cndmask_b32_e32 v11, v14, v11, vcc
; %bb.111:                              ;   in Loop: Header=BB20_89 Depth=1
	s_or_b64 exec, exec, s[6:7]
.LBB20_112:                             ;   in Loop: Header=BB20_89 Depth=1
	s_cbranch_execz .LBB20_115
	s_branch .LBB20_119
.LBB20_113:                             ;   in Loop: Header=BB20_89 Depth=1
                                        ; implicit-def: $vgpr11
	s_branch .LBB20_120
.LBB20_114:                             ;   in Loop: Header=BB20_89 Depth=1
                                        ; implicit-def: $vgpr11
.LBB20_115:                             ;   in Loop: Header=BB20_89 Depth=1
	s_cmp_eq_u32 s24, 4
	s_waitcnt lgkmcnt(0)
	v_mov_b32_e32 v11, v0
	s_cbranch_scc0 .LBB20_119
; %bb.116:                              ;   in Loop: Header=BB20_89 Depth=1
	s_nop 0
	v_mov_b32_dpp v11, v0 quad_perm:[1,0,3,2] row_mask:0xf bank_mask:0xf
	v_mov_b32_dpp v13, v4 quad_perm:[1,0,3,2] row_mask:0xf bank_mask:0xf
	v_cmp_eq_f32_e64 s[6:7], v4, v13
	v_cmp_lt_i32_e64 s[8:9], v0, v11
	v_cmp_lt_f32_e32 vcc, v4, v13
	s_and_b64 s[6:7], s[6:7], s[8:9]
	s_or_b64 vcc, vcc, s[6:7]
	v_cndmask_b32_e32 v13, v13, v4, vcc
	v_cndmask_b32_e32 v11, v11, v0, vcc
	s_nop 0
	v_mov_b32_dpp v15, v13 quad_perm:[2,3,0,1] row_mask:0xf bank_mask:0xf
	v_mov_b32_dpp v14, v11 quad_perm:[2,3,0,1] row_mask:0xf bank_mask:0xf
	v_cmp_nlt_f32_e32 vcc, v13, v15
	s_and_saveexec_b64 s[6:7], vcc
; %bb.117:                              ;   in Loop: Header=BB20_89 Depth=1
	v_min_i32_e32 v11, v11, v14
	v_cmp_eq_f32_e32 vcc, v13, v15
	v_cndmask_b32_e32 v11, v14, v11, vcc
; %bb.118:                              ;   in Loop: Header=BB20_89 Depth=1
	s_or_b64 exec, exec, s[6:7]
.LBB20_119:                             ;   in Loop: Header=BB20_89 Depth=1
	s_cbranch_execnz .LBB20_88
.LBB20_120:                             ;   in Loop: Header=BB20_89 Depth=1
	s_cmp_lg_u32 s24, 2
	s_waitcnt lgkmcnt(0)
	v_mov_b32_e32 v11, v0
	s_cbranch_scc1 .LBB20_88
; %bb.121:                              ;   in Loop: Header=BB20_89 Depth=1
	v_mov_b32_dpp v14, v4 quad_perm:[1,0,3,2] row_mask:0xf bank_mask:0xf
	v_mov_b32_dpp v13, v0 quad_perm:[1,0,3,2] row_mask:0xf bank_mask:0xf
	v_cmp_nlt_f32_e32 vcc, v4, v14
	v_mov_b32_e32 v11, v0
	s_and_saveexec_b64 s[6:7], vcc
	s_cbranch_execz .LBB20_87
; %bb.122:                              ;   in Loop: Header=BB20_89 Depth=1
	v_min_i32_e32 v11, v0, v13
	v_cmp_eq_f32_e32 vcc, v4, v14
	v_cndmask_b32_e32 v11, v13, v11, vcc
	s_branch .LBB20_87
.LBB20_123:
	s_load_dwordx4 s[12:15], s[4:5], 0x40
	s_load_dwordx2 s[26:27], s[4:5], 0x50
	s_load_dword s23, s[4:5], 0x58
	s_mov_b64 s[4:5], src_shared_base
	s_cmp_lg_u32 0, -1
	s_cselect_b32 s4, s5, 0
	s_cselect_b32 s5, 0, 0
	s_add_u32 s5, s5, 0xff
	s_addc_u32 s4, s4, 0
	s_and_b32 s5, s5, 0xffffff00
	v_mov_b32_e32 v4, s5
	v_mov_b32_e32 v5, s4
	s_waitcnt lgkmcnt(0)
	s_lshl_b32 s6, s12, 2
	v_mad_u64_u32 v[8:9], s[4:5], s6, v2, v[4:5]
	v_mov_b32_e32 v5, s12
	s_sub_u32 s28, s12, s14
	v_ashrrev_i32_e32 v10, 31, v2
	v_alignbit_b32 v5, s13, v5, 30
	s_subb_u32 s29, s13, s15
	v_mul_lo_u32 v4, s6, v10
	v_mul_lo_u32 v2, v5, v2
	v_cmp_lt_i64_e64 s[4:5], s[28:29], 1
	v_add3_u32 v9, v2, v9, v4
	s_and_b64 vcc, exec, s[4:5]
	v_cmp_eq_u32_e64 s[4:5], 0, v12
	s_waitcnt vmcnt(0)
	buffer_store_dword v1, off, s[0:3], 0 offset:128
	s_cbranch_vccnz .LBB20_200
; %bb.124:
	s_cmp_lt_i32 s10, 2
	s_cselect_b64 s[30:31], -1, 0
	v_mad_u64_u32 v[4:5], s[6:7], v6, s23, 0
	s_add_i32 s9, s10, -1
	s_ashr_i32 s8, s23, 31
	s_add_i32 s6, s10, -2
	s_and_b32 s25, s9, 7
	s_cmp_gt_u32 s6, 6
	s_cselect_b64 s[6:7], -1, 0
	s_and_b32 s33, s9, -8
	s_cmp_lg_u32 s25, 0
	s_cselect_b64 s[34:35], -1, 0
	s_and_b32 s42, s10, 7
	s_cmp_gt_u32 s9, 6
	s_cselect_b64 s[36:37], -1, 0
	s_and_b32 s43, s10, 0x7ffffff8
	s_cmp_lg_u32 s42, 0
	s_cselect_b64 s[38:39], -1, 0
	s_abs_i32 s44, s10
	v_cvt_f32_u32_e32 v1, s44
	v_mov_b32_e32 v2, v5
	v_mad_u64_u32 v[10:11], s[8:9], v6, s8, v[2:3]
	v_rcp_iflag_f32_e32 v1, v1
	v_mov_b32_e32 v5, v10
	v_lshlrev_b64 v[4:5], 2, v[4:5]
	v_mov_b32_e32 v2, s19
	v_mul_f32_e32 v1, 0x4f7ffffe, v1
	v_cvt_u32_f32_e32 v10, v1
	v_add_co_u32_e32 v1, vcc, s18, v4
	s_sub_i32 s8, 0, s44
	v_addc_co_u32_e32 v4, vcc, v2, v5, vcc
	v_mul_lo_u32 v2, s8, v10
	v_mul_hi_u32 v2, v10, v2
	v_add_u32_e32 v5, v10, v2
	v_cndmask_b32_e64 v2, 0, 1, s[6:7]
	v_mov_b32_e32 v10, 0x80
	v_cmp_ne_u32_e64 s[6:7], 1, v2
	v_mbcnt_hi_u32_b32 v14, -1, v3
	v_bfrev_b32_e32 v2, 0.5
	s_ashr_i32 s45, s10, 31
	v_mov_b32_e32 v18, 0
	v_or_b32_e32 v11, 4, v10
	s_mov_b64 s[40:41], 0
	s_mov_b32 s46, 0x7f7fffff
	v_mov_b32_e32 v13, 0xff7fffff
	v_lshl_or_b32 v15, v14, 2, v2
	v_mov_b32_e32 v16, 0x7c
	s_branch .LBB20_126
.LBB20_125:                             ;   in Loop: Header=BB20_126 Depth=1
	s_or_b64 exec, exec, s[8:9]
	s_add_u32 s40, s40, 1
	s_addc_u32 s41, s41, 0
	v_pk_mov_b32 v[2:3], s[40:41], s[40:41] op_sel:[0,1]
	v_cmp_le_i64_e32 vcc, s[28:29], v[2:3]
	s_cbranch_vccnz .LBB20_201
.LBB20_126:                             ; =>This Loop Header: Depth=1
                                        ;     Child Loop BB20_129 Depth 2
                                        ;     Child Loop BB20_133 Depth 2
	;; [unrolled: 1-line block ×4, first 2 shown]
	buffer_load_dword v17, off, s[0:3], 0 offset:128
	v_mov_b32_e32 v2, v0
	s_waitcnt vmcnt(0)
	v_cmp_eq_f32_e32 vcc, s46, v17
	s_or_b64 s[8:9], s[30:31], vcc
	v_cndmask_b32_e32 v3, v17, v13, vcc
	s_xor_b64 s[10:11], s[8:9], -1
	s_and_saveexec_b64 s[8:9], s[10:11]
	s_cbranch_execz .LBB20_135
; %bb.127:                              ;   in Loop: Header=BB20_126 Depth=1
	s_and_b64 vcc, exec, s[6:7]
	s_mov_b32 s10, 1
	s_cbranch_vccnz .LBB20_131
; %bb.128:                              ;   in Loop: Header=BB20_126 Depth=1
	s_mov_b32 s11, 0
	v_mov_b32_e32 v3, v11
	v_mov_b32_e32 v2, v0
.LBB20_129:                             ;   Parent Loop BB20_126 Depth=1
                                        ; =>  This Inner Loop Header: Depth=2
	buffer_load_dword v19, v3, s[0:3], 0 offen
	buffer_load_dword v20, v3, s[0:3], 0 offen offset:4
	buffer_load_dword v21, v3, s[0:3], 0 offen offset:8
	;; [unrolled: 1-line block ×7, first 2 shown]
	s_mov_b32 s10, s11
	v_add_u32_e32 v27, s10, v0
	v_add_u32_e32 v28, 1, v27
	;; [unrolled: 1-line block ×8, first 2 shown]
	s_add_i32 s11, s11, 8
	v_add_u32_e32 v27, 8, v27
	v_add_u32_e32 v3, 32, v3
	s_cmp_lg_u32 s33, s11
	s_waitcnt vmcnt(7)
	v_cmp_gt_f32_e32 vcc, v19, v17
	v_cndmask_b32_e32 v17, v17, v19, vcc
	v_cndmask_b32_e32 v2, v2, v28, vcc
	s_waitcnt vmcnt(6)
	v_cmp_gt_f32_e32 vcc, v20, v17
	v_cndmask_b32_e32 v17, v17, v20, vcc
	v_cndmask_b32_e32 v2, v2, v29, vcc
	;; [unrolled: 4-line block ×8, first 2 shown]
	s_cbranch_scc1 .LBB20_129
; %bb.130:                              ;   in Loop: Header=BB20_126 Depth=1
	s_add_i32 s10, s10, 9
	s_andn2_b64 vcc, exec, s[34:35]
	s_cbranch_vccz .LBB20_132
	s_branch .LBB20_134
.LBB20_131:                             ;   in Loop: Header=BB20_126 Depth=1
	v_mov_b32_e32 v2, v0
	s_andn2_b64 vcc, exec, s[34:35]
	s_cbranch_vccnz .LBB20_134
.LBB20_132:                             ;   in Loop: Header=BB20_126 Depth=1
	v_add_u32_e32 v3, s10, v0
	s_lshl_b32 s10, s10, 2
	v_add_u32_e32 v19, s10, v10
	s_mov_b32 s10, s25
.LBB20_133:                             ;   Parent Loop BB20_126 Depth=1
                                        ; =>  This Inner Loop Header: Depth=2
	buffer_load_dword v20, v19, s[0:3], 0 offen
	s_add_i32 s10, s10, -1
	v_add_u32_e32 v19, 4, v19
	s_cmp_lg_u32 s10, 0
	s_waitcnt vmcnt(0)
	v_cmp_gt_f32_e32 vcc, v20, v17
	v_cndmask_b32_e32 v17, v17, v20, vcc
	v_cndmask_b32_e32 v2, v2, v3, vcc
	v_add_u32_e32 v3, 1, v3
	s_cbranch_scc1 .LBB20_133
.LBB20_134:                             ;   in Loop: Header=BB20_126 Depth=1
	v_mov_b32_e32 v3, v17
.LBB20_135:                             ;   in Loop: Header=BB20_126 Depth=1
	s_or_b64 exec, exec, s[8:9]
	s_cmp_lt_i32 s24, 16
	s_cbranch_scc1 .LBB20_141
; %bb.136:                              ;   in Loop: Header=BB20_126 Depth=1
	s_cmp_lt_i32 s24, 32
	s_cbranch_scc1 .LBB20_142
; %bb.137:                              ;   in Loop: Header=BB20_126 Depth=1
	;; [unrolled: 3-line block ×3, first 2 shown]
	s_cmp_eq_u32 s24, 64
	v_mov_b32_e32 v17, v2
	s_cbranch_scc0 .LBB20_140
; %bb.139:                              ;   in Loop: Header=BB20_126 Depth=1
	s_nop 0
	v_mov_b32_dpp v17, v2 quad_perm:[1,0,3,2] row_mask:0xf bank_mask:0xf
	v_mov_b32_dpp v19, v3 quad_perm:[1,0,3,2] row_mask:0xf bank_mask:0xf
	v_cmp_eq_f32_e64 s[8:9], v3, v19
	v_cmp_lt_i32_e64 s[10:11], v2, v17
	v_cmp_gt_f32_e32 vcc, v3, v19
	s_and_b64 s[8:9], s[8:9], s[10:11]
	s_or_b64 vcc, vcc, s[8:9]
	v_cndmask_b32_e32 v19, v19, v3, vcc
	v_cndmask_b32_e32 v17, v17, v2, vcc
	s_nop 0
	v_mov_b32_dpp v21, v19 quad_perm:[2,3,0,1] row_mask:0xf bank_mask:0xf
	v_mov_b32_dpp v20, v17 quad_perm:[2,3,0,1] row_mask:0xf bank_mask:0xf
	v_cmp_eq_f32_e32 vcc, v19, v21
	v_cmp_lt_i32_e64 s[8:9], v17, v20
	s_and_b64 vcc, vcc, s[8:9]
	v_cmp_gt_f32_e64 s[8:9], v19, v21
	v_cndmask_b32_e32 v22, v21, v19, vcc
	s_or_b64 vcc, s[8:9], vcc
	v_cndmask_b32_e64 v19, v22, v19, s[8:9]
	v_cndmask_b32_e32 v17, v20, v17, vcc
	s_nop 0
	v_mov_b32_dpp v21, v19 row_ror:4 row_mask:0xf bank_mask:0xf
	v_mov_b32_dpp v20, v17 row_ror:4 row_mask:0xf bank_mask:0xf
	v_cmp_eq_f32_e32 vcc, v19, v21
	v_cmp_lt_i32_e64 s[8:9], v17, v20
	s_and_b64 vcc, vcc, s[8:9]
	v_cmp_gt_f32_e64 s[8:9], v19, v21
	v_cndmask_b32_e32 v22, v21, v19, vcc
	s_or_b64 vcc, s[8:9], vcc
	v_cndmask_b32_e64 v19, v22, v19, s[8:9]
	v_cndmask_b32_e32 v17, v20, v17, vcc
	s_nop 0
	v_mov_b32_dpp v21, v19 row_ror:8 row_mask:0xf bank_mask:0xf
	v_mov_b32_dpp v20, v17 row_ror:8 row_mask:0xf bank_mask:0xf
	v_cmp_eq_f32_e32 vcc, v19, v21
	v_cmp_lt_i32_e64 s[8:9], v17, v20
	s_and_b64 vcc, vcc, s[8:9]
	v_cmp_gt_f32_e64 s[8:9], v19, v21
	v_cndmask_b32_e32 v22, v21, v19, vcc
	s_or_b64 vcc, s[8:9], vcc
	v_cndmask_b32_e64 v19, v22, v19, s[8:9]
	v_cndmask_b32_e32 v17, v20, v17, vcc
	s_nop 0
	v_mov_b32_dpp v21, v19 row_bcast:15 row_mask:0xf bank_mask:0xf
	v_mov_b32_dpp v20, v17 row_bcast:15 row_mask:0xf bank_mask:0xf
	v_cmp_eq_f32_e32 vcc, v19, v21
	v_cmp_lt_i32_e64 s[8:9], v17, v20
	s_and_b64 vcc, vcc, s[8:9]
	v_cmp_gt_f32_e64 s[8:9], v19, v21
	v_cndmask_b32_e32 v22, v21, v19, vcc
	s_or_b64 vcc, s[8:9], vcc
	v_cndmask_b32_e64 v19, v22, v19, s[8:9]
	v_cndmask_b32_e32 v17, v20, v17, vcc
	s_nop 0
	v_mov_b32_dpp v21, v19 row_bcast:31 row_mask:0xf bank_mask:0xf
	v_mov_b32_dpp v20, v17 row_bcast:31 row_mask:0xf bank_mask:0xf
	v_min_i32_e32 v22, v17, v20
	v_cmp_eq_f32_e32 vcc, v19, v21
	v_cndmask_b32_e32 v20, v20, v22, vcc
	v_cmp_gt_f32_e32 vcc, v19, v21
	v_cndmask_b32_e32 v17, v20, v17, vcc
	ds_bpermute_b32 v17, v15, v17
.LBB20_140:                             ;   in Loop: Header=BB20_126 Depth=1
	s_cbranch_execz .LBB20_144
	s_branch .LBB20_146
.LBB20_141:                             ;   in Loop: Header=BB20_126 Depth=1
                                        ; implicit-def: $vgpr17
	s_branch .LBB20_152
.LBB20_142:                             ;   in Loop: Header=BB20_126 Depth=1
                                        ; implicit-def: $vgpr17
	s_branch .LBB20_147
.LBB20_143:                             ;   in Loop: Header=BB20_126 Depth=1
                                        ; implicit-def: $vgpr17
.LBB20_144:                             ;   in Loop: Header=BB20_126 Depth=1
	s_cmp_eq_u32 s24, 32
	s_waitcnt lgkmcnt(0)
	v_mov_b32_e32 v17, v2
	s_cbranch_scc0 .LBB20_146
; %bb.145:                              ;   in Loop: Header=BB20_126 Depth=1
	s_nop 0
	v_mov_b32_dpp v17, v2 quad_perm:[1,0,3,2] row_mask:0xf bank_mask:0xf
	v_mov_b32_dpp v19, v3 quad_perm:[1,0,3,2] row_mask:0xf bank_mask:0xf
	v_cmp_eq_f32_e64 s[8:9], v3, v19
	v_cmp_lt_i32_e64 s[10:11], v2, v17
	v_cmp_gt_f32_e32 vcc, v3, v19
	s_and_b64 s[8:9], s[8:9], s[10:11]
	s_or_b64 vcc, vcc, s[8:9]
	v_cndmask_b32_e32 v19, v19, v3, vcc
	v_cndmask_b32_e32 v17, v17, v2, vcc
	s_nop 0
	v_mov_b32_dpp v21, v19 quad_perm:[2,3,0,1] row_mask:0xf bank_mask:0xf
	v_mov_b32_dpp v20, v17 quad_perm:[2,3,0,1] row_mask:0xf bank_mask:0xf
	v_cmp_eq_f32_e32 vcc, v19, v21
	v_cmp_lt_i32_e64 s[8:9], v17, v20
	s_and_b64 vcc, vcc, s[8:9]
	v_cmp_gt_f32_e64 s[8:9], v19, v21
	v_cndmask_b32_e32 v22, v21, v19, vcc
	s_or_b64 vcc, s[8:9], vcc
	v_cndmask_b32_e64 v19, v22, v19, s[8:9]
	v_cndmask_b32_e32 v17, v20, v17, vcc
	s_nop 0
	v_mov_b32_dpp v21, v19 row_half_mirror row_mask:0xf bank_mask:0xf
	v_mov_b32_dpp v20, v17 row_half_mirror row_mask:0xf bank_mask:0xf
	v_cmp_eq_f32_e32 vcc, v19, v21
	v_cmp_lt_i32_e64 s[8:9], v17, v20
	s_and_b64 vcc, vcc, s[8:9]
	v_cmp_gt_f32_e64 s[8:9], v19, v21
	v_cndmask_b32_e32 v22, v21, v19, vcc
	s_or_b64 vcc, s[8:9], vcc
	v_cndmask_b32_e64 v19, v22, v19, s[8:9]
	v_cndmask_b32_e32 v17, v20, v17, vcc
	s_nop 0
	v_mov_b32_dpp v21, v19 row_mirror row_mask:0xf bank_mask:0xf
	v_mov_b32_dpp v20, v17 row_mirror row_mask:0xf bank_mask:0xf
	v_cmp_eq_f32_e32 vcc, v19, v21
	v_cmp_lt_i32_e64 s[8:9], v17, v20
	s_and_b64 vcc, vcc, s[8:9]
	v_cmp_gt_f32_e64 s[8:9], v19, v21
	v_cndmask_b32_e32 v22, v21, v19, vcc
	s_or_b64 vcc, s[8:9], vcc
	v_cndmask_b32_e64 v19, v22, v19, s[8:9]
	v_cndmask_b32_e32 v17, v20, v17, vcc
	s_nop 0
	v_mov_b32_dpp v21, v19 row_bcast:15 row_mask:0xa bank_mask:0xf
	v_mov_b32_dpp v20, v17 row_bcast:15 row_mask:0xa bank_mask:0xf
	v_min_i32_e32 v22, v17, v20
	v_cmp_eq_f32_e32 vcc, v19, v21
	v_cndmask_b32_e32 v20, v20, v22, vcc
	v_cmp_gt_f32_e32 vcc, v19, v21
	v_cndmask_b32_e32 v17, v20, v17, vcc
	v_lshl_or_b32 v19, v14, 2, v16
	ds_bpermute_b32 v17, v19, v17
.LBB20_146:                             ;   in Loop: Header=BB20_126 Depth=1
	s_cbranch_execnz .LBB20_151
.LBB20_147:                             ;   in Loop: Header=BB20_126 Depth=1
	s_cmp_eq_u32 s24, 16
	s_waitcnt lgkmcnt(0)
	v_mov_b32_e32 v17, v2
	s_cbranch_scc0 .LBB20_151
; %bb.148:                              ;   in Loop: Header=BB20_126 Depth=1
	s_nop 0
	v_mov_b32_dpp v17, v2 quad_perm:[1,0,3,2] row_mask:0xf bank_mask:0xf
	v_mov_b32_dpp v19, v3 quad_perm:[1,0,3,2] row_mask:0xf bank_mask:0xf
	v_cmp_eq_f32_e64 s[8:9], v3, v19
	v_cmp_lt_i32_e64 s[10:11], v2, v17
	v_cmp_gt_f32_e32 vcc, v3, v19
	s_and_b64 s[8:9], s[8:9], s[10:11]
	s_or_b64 vcc, vcc, s[8:9]
	v_cndmask_b32_e32 v19, v19, v3, vcc
	v_cndmask_b32_e32 v17, v17, v2, vcc
	s_nop 0
	v_mov_b32_dpp v21, v19 quad_perm:[2,3,0,1] row_mask:0xf bank_mask:0xf
	v_mov_b32_dpp v20, v17 quad_perm:[2,3,0,1] row_mask:0xf bank_mask:0xf
	v_cmp_eq_f32_e32 vcc, v19, v21
	v_cmp_lt_i32_e64 s[8:9], v17, v20
	s_and_b64 vcc, vcc, s[8:9]
	v_cmp_gt_f32_e64 s[8:9], v19, v21
	v_cndmask_b32_e32 v22, v21, v19, vcc
	s_or_b64 vcc, s[8:9], vcc
	v_cndmask_b32_e64 v19, v22, v19, s[8:9]
	v_cndmask_b32_e32 v17, v20, v17, vcc
	s_nop 0
	v_mov_b32_dpp v21, v19 row_half_mirror row_mask:0xf bank_mask:0xf
	v_mov_b32_dpp v20, v17 row_half_mirror row_mask:0xf bank_mask:0xf
	v_cmp_eq_f32_e32 vcc, v19, v21
	v_cmp_lt_i32_e64 s[8:9], v17, v20
	s_and_b64 vcc, vcc, s[8:9]
	v_cndmask_b32_e32 v22, v21, v19, vcc
	v_cmp_gt_f32_e64 s[8:9], v19, v21
	v_cndmask_b32_e64 v19, v22, v19, s[8:9]
	s_or_b64 vcc, s[8:9], vcc
	v_cndmask_b32_e32 v17, v20, v17, vcc
	v_mov_b32_dpp v21, v19 row_mirror row_mask:0xf bank_mask:0xf
	v_cmp_ngt_f32_e32 vcc, v19, v21
	v_mov_b32_dpp v20, v17 row_mirror row_mask:0xf bank_mask:0xf
	s_and_saveexec_b64 s[8:9], vcc
; %bb.149:                              ;   in Loop: Header=BB20_126 Depth=1
	v_min_i32_e32 v17, v17, v20
	v_cmp_eq_f32_e32 vcc, v19, v21
	v_cndmask_b32_e32 v17, v20, v17, vcc
; %bb.150:                              ;   in Loop: Header=BB20_126 Depth=1
	s_or_b64 exec, exec, s[8:9]
.LBB20_151:                             ;   in Loop: Header=BB20_126 Depth=1
	s_cbranch_execnz .LBB20_171
.LBB20_152:                             ;   in Loop: Header=BB20_126 Depth=1
	s_cmp_lt_i32 s24, 4
	s_cbranch_scc1 .LBB20_159
; %bb.153:                              ;   in Loop: Header=BB20_126 Depth=1
	s_cmp_lt_i32 s24, 8
	s_cbranch_scc1 .LBB20_160
; %bb.154:                              ;   in Loop: Header=BB20_126 Depth=1
	s_cmp_eq_u32 s24, 8
	s_waitcnt lgkmcnt(0)
	v_mov_b32_e32 v17, v2
	s_cbranch_scc0 .LBB20_158
; %bb.155:                              ;   in Loop: Header=BB20_126 Depth=1
	s_nop 0
	v_mov_b32_dpp v17, v2 quad_perm:[1,0,3,2] row_mask:0xf bank_mask:0xf
	v_mov_b32_dpp v19, v3 quad_perm:[1,0,3,2] row_mask:0xf bank_mask:0xf
	v_cmp_eq_f32_e64 s[8:9], v3, v19
	v_cmp_lt_i32_e64 s[10:11], v2, v17
	v_cmp_gt_f32_e32 vcc, v3, v19
	s_and_b64 s[8:9], s[8:9], s[10:11]
	s_or_b64 vcc, vcc, s[8:9]
	v_cndmask_b32_e32 v19, v19, v3, vcc
	v_cndmask_b32_e32 v17, v17, v2, vcc
	s_nop 0
	v_mov_b32_dpp v21, v19 quad_perm:[2,3,0,1] row_mask:0xf bank_mask:0xf
	v_mov_b32_dpp v20, v17 quad_perm:[2,3,0,1] row_mask:0xf bank_mask:0xf
	v_cmp_eq_f32_e32 vcc, v19, v21
	v_cmp_lt_i32_e64 s[8:9], v17, v20
	s_and_b64 vcc, vcc, s[8:9]
	v_cndmask_b32_e32 v22, v21, v19, vcc
	v_cmp_gt_f32_e64 s[8:9], v19, v21
	v_cndmask_b32_e64 v19, v22, v19, s[8:9]
	s_or_b64 vcc, s[8:9], vcc
	v_cndmask_b32_e32 v17, v20, v17, vcc
	v_mov_b32_dpp v21, v19 row_half_mirror row_mask:0xf bank_mask:0xf
	v_cmp_ngt_f32_e32 vcc, v19, v21
	v_mov_b32_dpp v20, v17 row_half_mirror row_mask:0xf bank_mask:0xf
	s_and_saveexec_b64 s[8:9], vcc
; %bb.156:                              ;   in Loop: Header=BB20_126 Depth=1
	v_min_i32_e32 v17, v17, v20
	v_cmp_eq_f32_e32 vcc, v19, v21
	v_cndmask_b32_e32 v17, v20, v17, vcc
; %bb.157:                              ;   in Loop: Header=BB20_126 Depth=1
	s_or_b64 exec, exec, s[8:9]
.LBB20_158:                             ;   in Loop: Header=BB20_126 Depth=1
	s_cbranch_execz .LBB20_161
	s_branch .LBB20_165
.LBB20_159:                             ;   in Loop: Header=BB20_126 Depth=1
                                        ; implicit-def: $vgpr17
	s_branch .LBB20_166
.LBB20_160:                             ;   in Loop: Header=BB20_126 Depth=1
                                        ; implicit-def: $vgpr17
.LBB20_161:                             ;   in Loop: Header=BB20_126 Depth=1
	s_cmp_eq_u32 s24, 4
	s_waitcnt lgkmcnt(0)
	v_mov_b32_e32 v17, v2
	s_cbranch_scc0 .LBB20_165
; %bb.162:                              ;   in Loop: Header=BB20_126 Depth=1
	s_nop 0
	v_mov_b32_dpp v17, v2 quad_perm:[1,0,3,2] row_mask:0xf bank_mask:0xf
	v_mov_b32_dpp v19, v3 quad_perm:[1,0,3,2] row_mask:0xf bank_mask:0xf
	v_cmp_eq_f32_e64 s[8:9], v3, v19
	v_cmp_lt_i32_e64 s[10:11], v2, v17
	v_cmp_gt_f32_e32 vcc, v3, v19
	s_and_b64 s[8:9], s[8:9], s[10:11]
	s_or_b64 vcc, vcc, s[8:9]
	v_cndmask_b32_e32 v19, v19, v3, vcc
	v_cndmask_b32_e32 v17, v17, v2, vcc
	s_nop 0
	v_mov_b32_dpp v21, v19 quad_perm:[2,3,0,1] row_mask:0xf bank_mask:0xf
	v_mov_b32_dpp v20, v17 quad_perm:[2,3,0,1] row_mask:0xf bank_mask:0xf
	v_cmp_ngt_f32_e32 vcc, v19, v21
	s_and_saveexec_b64 s[8:9], vcc
; %bb.163:                              ;   in Loop: Header=BB20_126 Depth=1
	v_min_i32_e32 v17, v17, v20
	v_cmp_eq_f32_e32 vcc, v19, v21
	v_cndmask_b32_e32 v17, v20, v17, vcc
; %bb.164:                              ;   in Loop: Header=BB20_126 Depth=1
	s_or_b64 exec, exec, s[8:9]
.LBB20_165:                             ;   in Loop: Header=BB20_126 Depth=1
	s_cbranch_execnz .LBB20_171
.LBB20_166:                             ;   in Loop: Header=BB20_126 Depth=1
	s_cmp_lg_u32 s24, 2
	s_cbranch_scc1 .LBB20_170
; %bb.167:                              ;   in Loop: Header=BB20_126 Depth=1
	v_mov_b32_dpp v19, v3 quad_perm:[1,0,3,2] row_mask:0xf bank_mask:0xf
	s_waitcnt lgkmcnt(0)
	v_mov_b32_dpp v17, v2 quad_perm:[1,0,3,2] row_mask:0xf bank_mask:0xf
	v_cmp_ngt_f32_e32 vcc, v3, v19
	s_and_saveexec_b64 s[8:9], vcc
; %bb.168:                              ;   in Loop: Header=BB20_126 Depth=1
	v_min_i32_e32 v2, v2, v17
	v_cmp_eq_f32_e32 vcc, v3, v19
	v_cndmask_b32_e32 v2, v17, v2, vcc
; %bb.169:                              ;   in Loop: Header=BB20_126 Depth=1
	s_or_b64 exec, exec, s[8:9]
.LBB20_170:                             ;   in Loop: Header=BB20_126 Depth=1
	s_waitcnt lgkmcnt(0)
	v_mov_b32_e32 v17, v2
.LBB20_171:                             ;   in Loop: Header=BB20_126 Depth=1
	s_waitcnt lgkmcnt(0)
	v_sub_u32_e32 v3, 0, v17
	v_max_i32_e32 v3, v17, v3
	v_mul_hi_u32 v19, v3, v5
	v_mul_lo_u32 v20, v19, s44
	v_sub_u32_e32 v3, v3, v20
	v_add_u32_e32 v20, 1, v19
	v_cmp_le_u32_e32 vcc, s44, v3
	v_cndmask_b32_e32 v19, v19, v20, vcc
	v_subrev_u32_e32 v20, s44, v3
	v_cndmask_b32_e32 v3, v3, v20, vcc
	v_ashrrev_i32_e32 v2, 31, v17
	v_add_u32_e32 v20, 1, v19
	v_cmp_le_u32_e32 vcc, s44, v3
	v_xor_b32_e32 v2, s45, v2
	v_cndmask_b32_e32 v3, v19, v20, vcc
	v_xor_b32_e32 v3, v3, v2
	v_sub_u32_e32 v2, v3, v2
	v_cmp_eq_u32_e32 vcc, v12, v2
	s_and_saveexec_b64 s[8:9], vcc
	s_cbranch_execz .LBB20_198
; %bb.172:                              ;   in Loop: Header=BB20_126 Depth=1
	s_andn2_b64 vcc, exec, s[20:21]
	s_cbranch_vccnz .LBB20_197
; %bb.173:                              ;   in Loop: Header=BB20_126 Depth=1
	s_lshl_b64 s[10:11], s[40:41], 2
	v_sub_u32_e32 v21, v17, v0
	v_mov_b32_e32 v3, s11
	v_add_co_u32_e32 v2, vcc, s10, v8
	v_addc_co_u32_e32 v3, vcc, v9, v3, vcc
	v_lshlrev_b32_e32 v20, 2, v21
	v_add_u32_e32 v19, 0, v20
	v_add_u32_e32 v20, 0x80, v20
	s_andn2_b64 vcc, exec, s[36:37]
	s_mov_b32 s10, 0
	s_cbranch_vccz .LBB20_176
; %bb.174:                              ;   in Loop: Header=BB20_126 Depth=1
	s_andn2_b64 vcc, exec, s[38:39]
	s_cbranch_vccz .LBB20_193
	s_branch .LBB20_197
.LBB20_175:                             ;   in Loop: Header=BB20_176 Depth=2
	s_or_b64 exec, exec, s[10:11]
	s_add_i32 s10, s48, 1
	s_cmp_eq_u32 s10, s43
	s_cbranch_scc1 .LBB20_192
.LBB20_176:                             ;   Parent Loop BB20_126 Depth=1
                                        ; =>  This Inner Loop Header: Depth=2
	s_mov_b32 s47, s10
	v_cmp_eq_u32_e32 vcc, s47, v21
	s_and_saveexec_b64 s[10:11], vcc
	s_cbranch_execz .LBB20_178
; %bb.177:                              ;   in Loop: Header=BB20_176 Depth=2
	buffer_load_dword v22, v19, s[0:3], 0 offen
	s_nop 0
	buffer_store_dword v13, v20, s[0:3], 0 offen
	s_waitcnt vmcnt(0)
	flat_store_dword v[2:3], v22
.LBB20_178:                             ;   in Loop: Header=BB20_176 Depth=2
	s_or_b64 exec, exec, s[10:11]
	s_add_i32 s48, s47, 1
	v_cmp_eq_u32_e32 vcc, s48, v21
	s_and_saveexec_b64 s[10:11], vcc
	s_cbranch_execz .LBB20_180
; %bb.179:                              ;   in Loop: Header=BB20_176 Depth=2
	buffer_load_dword v22, v19, s[0:3], 0 offen
	s_nop 0
	buffer_store_dword v13, v20, s[0:3], 0 offen
	s_waitcnt vmcnt(0)
	flat_store_dword v[2:3], v22
.LBB20_180:                             ;   in Loop: Header=BB20_176 Depth=2
	s_or_b64 exec, exec, s[10:11]
	s_add_i32 s48, s48, 1
	;; [unrolled: 12-line block ×7, first 2 shown]
	v_cmp_eq_u32_e32 vcc, s48, v21
	s_and_saveexec_b64 s[10:11], vcc
	s_cbranch_execz .LBB20_175
; %bb.191:                              ;   in Loop: Header=BB20_176 Depth=2
	buffer_load_dword v22, v19, s[0:3], 0 offen
	s_nop 0
	buffer_store_dword v13, v20, s[0:3], 0 offen
	s_waitcnt vmcnt(0)
	flat_store_dword v[2:3], v22
	s_branch .LBB20_175
.LBB20_192:                             ;   in Loop: Header=BB20_126 Depth=1
	s_add_i32 s10, s47, 8
	s_andn2_b64 vcc, exec, s[38:39]
	s_cbranch_vccnz .LBB20_197
.LBB20_193:                             ;   in Loop: Header=BB20_126 Depth=1
	v_add_u32_e32 v21, s10, v0
	v_sub_u32_e32 v21, v21, v17
	s_mov_b32 s47, s42
	s_branch .LBB20_195
.LBB20_194:                             ;   in Loop: Header=BB20_195 Depth=2
	s_or_b64 exec, exec, s[10:11]
	s_add_i32 s47, s47, -1
	s_cmp_lg_u32 s47, 0
	v_add_u32_e32 v21, 1, v21
	s_cbranch_scc0 .LBB20_197
.LBB20_195:                             ;   Parent Loop BB20_126 Depth=1
                                        ; =>  This Inner Loop Header: Depth=2
	v_cmp_eq_u32_e32 vcc, 0, v21
	s_and_saveexec_b64 s[10:11], vcc
	s_cbranch_execz .LBB20_194
; %bb.196:                              ;   in Loop: Header=BB20_195 Depth=2
	buffer_load_dword v22, v19, s[0:3], 0 offen
	s_nop 0
	buffer_store_dword v13, v20, s[0:3], 0 offen
	s_waitcnt vmcnt(0)
	flat_store_dword v[2:3], v22
	s_branch .LBB20_194
.LBB20_197:                             ;   in Loop: Header=BB20_126 Depth=1
	s_lshl_b64 s[10:11], s[40:41], 2
	v_mov_b32_e32 v3, s11
	v_add_co_u32_e32 v2, vcc, s10, v1
	v_addc_co_u32_e32 v3, vcc, v4, v3, vcc
	global_store_dword v[2:3], v17, off
.LBB20_198:                             ;   in Loop: Header=BB20_126 Depth=1
	s_or_b64 exec, exec, s[8:9]
	s_waitcnt lgkmcnt(0)
	s_barrier
	s_and_saveexec_b64 s[8:9], s[4:5]
	s_cbranch_execz .LBB20_125
; %bb.199:                              ;   in Loop: Header=BB20_126 Depth=1
	s_lshl_b64 s[10:11], s[40:41], 2
	v_mov_b32_e32 v3, s11
	v_add_co_u32_e32 v2, vcc, s10, v8
	v_addc_co_u32_e32 v3, vcc, v9, v3, vcc
	flat_load_dword v2, v[2:3]
	s_waitcnt vmcnt(0) lgkmcnt(0)
	v_add_f32_e32 v18, v18, v2
	s_branch .LBB20_125
.LBB20_200:
	v_mov_b32_e32 v18, 0
.LBB20_201:
	v_cmp_eq_u32_e64 s[4:5], 0, v12
	v_cmp_gt_i64_e64 s[6:7], s[14:15], 0
	s_and_b64 s[8:9], s[6:7], s[4:5]
	s_and_saveexec_b64 s[6:7], s[8:9]
	s_cbranch_execz .LBB20_214
; %bb.202:
	v_cmp_le_u64_e32 vcc, s[14:15], v[6:7]
	v_pk_mov_b32 v[0:1], v[6:7], v[6:7] op_sel:[0,1]
	s_and_saveexec_b64 s[8:9], vcc
	s_cbranch_execz .LBB20_204
; %bb.203:
	v_cvt_f32_u32_e32 v0, s14
	s_sub_i32 s10, 0, s14
	v_rcp_iflag_f32_e32 v0, v0
	v_mul_f32_e32 v0, 0x4f7ffffe, v0
	v_cvt_u32_f32_e32 v0, v0
	v_mul_lo_u32 v1, s10, v0
	v_mul_hi_u32 v1, v0, v1
	v_add_u32_e32 v0, v0, v1
	v_mul_hi_u32 v0, v6, v0
	v_mul_lo_u32 v0, v0, s14
	v_sub_u32_e32 v0, v6, v0
	v_subrev_u32_e32 v1, s14, v0
	v_cmp_le_u32_e32 vcc, s14, v0
	v_cndmask_b32_e32 v0, v0, v1, vcc
	v_subrev_u32_e32 v1, s14, v0
	v_cmp_le_u32_e32 vcc, s14, v0
	v_cndmask_b32_e32 v0, v0, v1, vcc
	v_mov_b32_e32 v1, 0
.LBB20_204:
	s_or_b64 exec, exec, s[8:9]
	v_cvt_f64_f32_e32 v[10:11], v18
	v_pk_mov_b32 v[2:3], s[28:29], s[28:29] op_sel:[0,1]
	v_div_scale_f64 v[16:17], s[8:9], s[26:27], s[26:27], v[10:11]
	v_mad_u64_u32 v[12:13], s[8:9], v6, s23, v[2:3]
	v_rcp_f64_e32 v[20:21], v[16:17]
	s_ashr_i32 s10, s23, 31
	v_mov_b32_e32 v2, v13
	v_mad_u64_u32 v[2:3], s[8:9], v6, s10, v[2:3]
	v_mov_b32_e32 v13, v2
	v_lshlrev_b64 v[14:15], 2, v[12:13]
	v_fma_f64 v[22:23], -v[16:17], v[20:21], 1.0
	v_mov_b32_e32 v3, s19
	v_add_co_u32_e32 v4, vcc, s18, v14
	v_fmac_f64_e32 v[20:21], v[20:21], v[22:23]
	v_addc_co_u32_e32 v5, vcc, v3, v15, vcc
	v_fma_f64 v[22:23], -v[16:17], v[20:21], 1.0
	v_fmac_f64_e32 v[20:21], v[20:21], v[22:23]
	v_div_scale_f64 v[22:23], vcc, v[10:11], s[26:27], v[10:11]
	v_mul_f64 v[24:25], v[22:23], v[20:21]
	v_fma_f64 v[16:17], -v[16:17], v[24:25], v[22:23]
	v_mov_b32_e32 v3, s17
	s_nop 0
	v_div_fmas_f64 v[16:17], v[16:17], v[20:21], v[24:25]
	v_div_fixup_f64 v[10:11], v[16:17], s[26:27], v[10:11]
	v_add_co_u32_e32 v16, vcc, s16, v14
	v_addc_co_u32_e32 v17, vcc, v3, v15, vcc
	v_cmp_lt_u64_e64 s[8:9], s[14:15], 2
	v_add_u32_e32 v2, s22, v0
	v_cvt_f32_f64_e32 v10, v[10:11]
	s_and_b64 vcc, exec, s[8:9]
	global_store_dword v[4:5], v2, off
	global_store_dword v[16:17], v10, off
	s_cbranch_vccnz .LBB20_214
; %bb.205:
	s_cmp_eq_u64 s[14:15], 2
	s_cbranch_scc1 .LBB20_210
; %bb.206:
	v_add_co_u32_e32 v2, vcc, 1, v0
	v_addc_co_u32_e32 v3, vcc, 0, v1, vcc
	s_add_u32 s8, s14, -1
	v_add_co_u32_e32 v14, vcc, 4, v4
	s_addc_u32 s9, s15, -1
	v_addc_co_u32_e32 v15, vcc, 0, v5, vcc
	s_and_b32 s10, s8, -2
	s_mov_b32 s11, s9
	s_add_i32 s24, s22, 1
	v_add_co_u32_e32 v16, vcc, 4, v16
	v_pk_mov_b32 v[4:5], v[2:3], v[2:3] op_sel:[0,1]
	v_mov_b32_e32 v11, v10
	s_mov_b32 s25, s24
	v_addc_co_u32_e32 v17, vcc, 0, v17, vcc
	s_mov_b64 s[20:21], s[10:11]
	v_pk_mov_b32 v[2:3], v[0:1], v[0:1] op_sel:[0,1]
.LBB20_207:                             ; =>This Inner Loop Header: Depth=1
	v_add_u32_e32 v21, s25, v4
	v_add_co_u32_e32 v4, vcc, 2, v4
	v_addc_co_u32_e32 v5, vcc, 0, v5, vcc
	v_add_u32_e32 v20, s24, v2
	v_add_co_u32_e32 v2, vcc, 2, v2
	v_addc_co_u32_e32 v3, vcc, 0, v3, vcc
	global_store_dwordx2 v[16:17], v[10:11], off
	v_add_co_u32_e32 v16, vcc, 8, v16
	v_addc_co_u32_e32 v17, vcc, 0, v17, vcc
	s_add_u32 s20, s20, -2
	global_store_dwordx2 v[14:15], v[20:21], off
	s_addc_u32 s21, s21, -1
	v_add_co_u32_e32 v14, vcc, 8, v14
	s_cmp_lg_u64 s[20:21], 0
	v_addc_co_u32_e32 v15, vcc, 0, v15, vcc
	s_cbranch_scc1 .LBB20_207
; %bb.208:
	s_cmp_eq_u64 s[8:9], s[10:11]
	s_cbranch_scc1 .LBB20_211
; %bb.209:
	v_mov_b32_e32 v1, s11
	v_add_co_u32_e32 v12, vcc, s10, v12
	s_add_i32 s9, s22, s10
	s_or_b32 s8, s8, 1
	v_addc_co_u32_e32 v13, vcc, v13, v1, vcc
	v_add_u32_e32 v2, s9, v0
	s_cbranch_execnz .LBB20_212
	s_branch .LBB20_214
.LBB20_210:
	s_mov_b32 s8, 1
	s_cbranch_execnz .LBB20_212
	s_branch .LBB20_214
.LBB20_211:
	s_mov_b32 s8, 1
                                        ; implicit-def: $vgpr12_vgpr13
                                        ; implicit-def: $vgpr2
	s_branch .LBB20_214
.LBB20_212:
	v_lshlrev_b64 v[0:1], 2, v[12:13]
	v_add_u32_e32 v7, 1, v2
	v_add_co_u32_e32 v2, vcc, 4, v0
	v_addc_co_u32_e32 v3, vcc, 0, v1, vcc
	v_mov_b32_e32 v1, s17
	v_add_co_u32_e32 v0, vcc, s16, v2
	v_addc_co_u32_e32 v1, vcc, v1, v3, vcc
	v_mov_b32_e32 v4, s19
	v_add_co_u32_e32 v2, vcc, s18, v2
	s_mov_b32 s9, 0
	v_addc_co_u32_e32 v3, vcc, v4, v3, vcc
	v_pk_mov_b32 v[4:5], s[14:15], s[14:15] op_sel:[0,1]
.LBB20_213:                             ; =>This Inner Loop Header: Depth=1
	global_store_dword v[2:3], v7, off
	global_store_dword v[0:1], v10, off
	v_add_co_u32_e32 v0, vcc, 4, v0
	v_addc_co_u32_e32 v1, vcc, 0, v1, vcc
	s_add_u32 s8, s8, 1
	v_add_co_u32_e32 v2, vcc, 4, v2
	v_addc_co_u32_e32 v3, vcc, 0, v3, vcc
	s_addc_u32 s9, s9, 0
	v_cmp_lt_u64_e32 vcc, s[8:9], v[4:5]
	v_add_u32_e32 v7, 1, v7
	s_cbranch_vccnz .LBB20_213
.LBB20_214:
	s_or_b64 exec, exec, s[6:7]
	v_cmp_gt_i64_e64 s[8:9], s[12:13], 0
	s_mov_b64 s[6:7], 0
	s_and_b64 s[4:5], s[8:9], s[4:5]
	s_barrier
	s_and_b64 exec, exec, s[4:5]
	s_cbranch_execz .LBB20_221
; %bb.215:
	v_mad_u64_u32 v[0:1], s[4:5], v6, s23, 0
	s_ashr_i32 s8, s23, 31
	v_mov_b32_e32 v2, v1
	v_mad_u64_u32 v[2:3], s[4:5], v6, s8, v[2:3]
	v_mov_b32_e32 v1, v2
	v_lshlrev_b64 v[0:1], 2, v[0:1]
	v_mov_b32_e32 v2, s17
	v_add_co_u32_e32 v4, vcc, s16, v0
	v_addc_co_u32_e32 v5, vcc, v2, v1, vcc
	v_cmp_lt_u64_e64 s[4:5], s[12:13], 8
	s_and_b64 vcc, exec, s[4:5]
	s_cbranch_vccnz .LBB20_218
; %bb.216:
	s_and_b32 s7, s13, 0x7fffffff
	s_and_b32 s6, s12, -8
	s_mov_b64 s[4:5], 0
	s_mov_b64 s[8:9], s[6:7]
.LBB20_217:                             ; =>This Inner Loop Header: Depth=1
	v_mov_b32_e32 v1, s5
	v_add_co_u32_e32 v2, vcc, s4, v8
	v_addc_co_u32_e32 v3, vcc, v9, v1, vcc
	flat_load_dword v6, v[2:3]
	v_add_co_u32_e32 v0, vcc, s4, v4
	v_addc_co_u32_e32 v1, vcc, v5, v1, vcc
	s_add_u32 s4, s4, 32
	s_addc_u32 s5, s5, 0
	s_add_u32 s8, s8, -8
	s_addc_u32 s9, s9, -1
	s_cmp_lg_u64 s[8:9], 0
	s_waitcnt vmcnt(0) lgkmcnt(0)
	v_div_scale_f32 v7, s[10:11], v18, v18, v6
	v_rcp_f32_e32 v11, v7
	v_div_scale_f32 v10, vcc, v6, v18, v6
	v_fma_f32 v12, -v7, v11, 1.0
	v_fmac_f32_e32 v11, v12, v11
	v_mul_f32_e32 v12, v10, v11
	v_fma_f32 v13, -v7, v12, v10
	v_fmac_f32_e32 v12, v13, v11
	v_fma_f32 v7, -v7, v12, v10
	v_div_fmas_f32 v7, v7, v11, v12
	v_div_fixup_f32 v6, v7, v18, v6
	global_store_dword v[0:1], v6, off
	flat_load_dword v6, v[2:3] offset:4
	s_waitcnt vmcnt(0) lgkmcnt(0)
	v_div_scale_f32 v7, s[10:11], v18, v18, v6
	v_rcp_f32_e32 v11, v7
	v_div_scale_f32 v10, vcc, v6, v18, v6
	v_fma_f32 v12, -v7, v11, 1.0
	v_fmac_f32_e32 v11, v12, v11
	v_mul_f32_e32 v12, v10, v11
	v_fma_f32 v13, -v7, v12, v10
	v_fmac_f32_e32 v12, v13, v11
	v_fma_f32 v7, -v7, v12, v10
	v_div_fmas_f32 v7, v7, v11, v12
	v_div_fixup_f32 v6, v7, v18, v6
	global_store_dword v[0:1], v6, off offset:4
	flat_load_dword v6, v[2:3] offset:8
	s_waitcnt vmcnt(0) lgkmcnt(0)
	v_div_scale_f32 v7, s[10:11], v18, v18, v6
	v_rcp_f32_e32 v11, v7
	v_div_scale_f32 v10, vcc, v6, v18, v6
	v_fma_f32 v12, -v7, v11, 1.0
	v_fmac_f32_e32 v11, v12, v11
	v_mul_f32_e32 v12, v10, v11
	v_fma_f32 v13, -v7, v12, v10
	v_fmac_f32_e32 v12, v13, v11
	v_fma_f32 v7, -v7, v12, v10
	v_div_fmas_f32 v7, v7, v11, v12
	v_div_fixup_f32 v6, v7, v18, v6
	global_store_dword v[0:1], v6, off offset:8
	;; [unrolled: 14-line block ×7, first 2 shown]
	s_cbranch_scc1 .LBB20_217
.LBB20_218:
	s_and_b32 s4, s12, 7
	s_mov_b32 s5, 0
	s_cmp_eq_u64 s[4:5], 0
	s_cbranch_scc1 .LBB20_221
; %bb.219:
	s_mov_b64 s[8:9], s[4:5]
.LBB20_220:                             ; =>This Inner Loop Header: Depth=1
	s_lshl_b64 s[10:11], s[6:7], 2
	v_mov_b32_e32 v2, s11
	v_add_co_u32_e32 v0, vcc, s10, v8
	v_addc_co_u32_e32 v1, vcc, v9, v2, vcc
	flat_load_dword v3, v[0:1]
	v_add_co_u32_e32 v0, vcc, s10, v4
	v_addc_co_u32_e32 v1, vcc, v5, v2, vcc
	s_add_i32 s4, s6, 1
	s_add_u32 s8, s8, -1
	s_addc_u32 s9, s9, -1
	s_mov_b64 s[6:7], s[4:5]
	s_cmp_lg_u64 s[8:9], 0
	s_waitcnt vmcnt(0) lgkmcnt(0)
	v_div_scale_f32 v2, s[10:11], v18, v18, v3
	v_rcp_f32_e32 v6, v2
	v_div_scale_f32 v7, vcc, v3, v18, v3
	v_fma_f32 v10, -v2, v6, 1.0
	v_fmac_f32_e32 v6, v10, v6
	v_mul_f32_e32 v10, v7, v6
	v_fma_f32 v11, -v2, v10, v7
	v_fmac_f32_e32 v10, v11, v6
	v_fma_f32 v2, -v2, v10, v7
	v_div_fmas_f32 v2, v2, v6, v10
	v_div_fixup_f32 v2, v2, v18, v3
	global_store_dword v[0:1], v2, off
	s_cbranch_scc1 .LBB20_220
.LBB20_221:
	s_endpgm
	.section	.rodata,"a",@progbits
	.p2align	6, 0x0
	.amdhsa_kernel _Z29moe_fused_gate_kernel_dynamicIDF16_EvPvS0_PfPilllllldi
		.amdhsa_group_segment_fixed_size 0
		.amdhsa_private_segment_fixed_size 272
		.amdhsa_kernarg_size 92
		.amdhsa_user_sgpr_count 8
		.amdhsa_user_sgpr_private_segment_buffer 1
		.amdhsa_user_sgpr_dispatch_ptr 0
		.amdhsa_user_sgpr_queue_ptr 0
		.amdhsa_user_sgpr_kernarg_segment_ptr 1
		.amdhsa_user_sgpr_dispatch_id 0
		.amdhsa_user_sgpr_flat_scratch_init 1
		.amdhsa_user_sgpr_kernarg_preload_length 0
		.amdhsa_user_sgpr_kernarg_preload_offset 0
		.amdhsa_user_sgpr_private_segment_size 0
		.amdhsa_uses_dynamic_stack 0
		.amdhsa_system_sgpr_private_segment_wavefront_offset 1
		.amdhsa_system_sgpr_workgroup_id_x 1
		.amdhsa_system_sgpr_workgroup_id_y 0
		.amdhsa_system_sgpr_workgroup_id_z 0
		.amdhsa_system_sgpr_workgroup_info 0
		.amdhsa_system_vgpr_workitem_id 1
		.amdhsa_next_free_vgpr 40
		.amdhsa_next_free_sgpr 49
		.amdhsa_accum_offset 40
		.amdhsa_reserve_vcc 1
		.amdhsa_reserve_flat_scratch 1
		.amdhsa_float_round_mode_32 0
		.amdhsa_float_round_mode_16_64 0
		.amdhsa_float_denorm_mode_32 3
		.amdhsa_float_denorm_mode_16_64 3
		.amdhsa_dx10_clamp 1
		.amdhsa_ieee_mode 1
		.amdhsa_fp16_overflow 0
		.amdhsa_tg_split 0
		.amdhsa_exception_fp_ieee_invalid_op 0
		.amdhsa_exception_fp_denorm_src 0
		.amdhsa_exception_fp_ieee_div_zero 0
		.amdhsa_exception_fp_ieee_overflow 0
		.amdhsa_exception_fp_ieee_underflow 0
		.amdhsa_exception_fp_ieee_inexact 0
		.amdhsa_exception_int_div_zero 0
	.end_amdhsa_kernel
	.section	.text._Z29moe_fused_gate_kernel_dynamicIDF16_EvPvS0_PfPilllllldi,"axG",@progbits,_Z29moe_fused_gate_kernel_dynamicIDF16_EvPvS0_PfPilllllldi,comdat
.Lfunc_end20:
	.size	_Z29moe_fused_gate_kernel_dynamicIDF16_EvPvS0_PfPilllllldi, .Lfunc_end20-_Z29moe_fused_gate_kernel_dynamicIDF16_EvPvS0_PfPilllllldi
                                        ; -- End function
	.section	.AMDGPU.csdata,"",@progbits
; Kernel info:
; codeLenInByte = 12412
; NumSgprs: 55
; NumVgprs: 40
; NumAgprs: 0
; TotalNumVgprs: 40
; ScratchSize: 272
; MemoryBound: 0
; FloatMode: 240
; IeeeMode: 1
; LDSByteSize: 0 bytes/workgroup (compile time only)
; SGPRBlocks: 6
; VGPRBlocks: 4
; NumSGPRsForWavesPerEU: 55
; NumVGPRsForWavesPerEU: 40
; AccumOffset: 40
; Occupancy: 8
; WaveLimiterHint : 0
; COMPUTE_PGM_RSRC2:SCRATCH_EN: 1
; COMPUTE_PGM_RSRC2:USER_SGPR: 8
; COMPUTE_PGM_RSRC2:TRAP_HANDLER: 0
; COMPUTE_PGM_RSRC2:TGID_X_EN: 1
; COMPUTE_PGM_RSRC2:TGID_Y_EN: 0
; COMPUTE_PGM_RSRC2:TGID_Z_EN: 0
; COMPUTE_PGM_RSRC2:TIDIG_COMP_CNT: 1
; COMPUTE_PGM_RSRC3_GFX90A:ACCUM_OFFSET: 9
; COMPUTE_PGM_RSRC3_GFX90A:TG_SPLIT: 0
	.section	.text._Z29moe_fused_gate_kernel_dynamicIfEvPvS0_PfPilllllldi,"axG",@progbits,_Z29moe_fused_gate_kernel_dynamicIfEvPvS0_PfPilllllldi,comdat
	.protected	_Z29moe_fused_gate_kernel_dynamicIfEvPvS0_PfPilllllldi ; -- Begin function _Z29moe_fused_gate_kernel_dynamicIfEvPvS0_PfPilllllldi
	.globl	_Z29moe_fused_gate_kernel_dynamicIfEvPvS0_PfPilllllldi
	.p2align	8
	.type	_Z29moe_fused_gate_kernel_dynamicIfEvPvS0_PfPilllllldi,@function
_Z29moe_fused_gate_kernel_dynamicIfEvPvS0_PfPilllllldi: ; @_Z29moe_fused_gate_kernel_dynamicIfEvPvS0_PfPilllllldi
; %bb.0:
	s_load_dwordx16 s[12:27], s[4:5], 0x0
	s_add_u32 flat_scratch_lo, s6, s9
	s_addc_u32 flat_scratch_hi, s7, 0
	s_add_u32 s0, s0, s9
	s_addc_u32 s1, s1, 0
	s_waitcnt lgkmcnt(0)
	s_or_b64 s[6:7], s[22:23], s[24:25]
	s_mov_b32 s6, 0
	s_cmp_lg_u64 s[6:7], 0
	s_cbranch_scc0 .LBB21_12
; %bb.1:
	s_ashr_i32 s10, s25, 31
	s_add_u32 s6, s24, s10
	s_mov_b32 s11, s10
	s_addc_u32 s7, s25, s10
	s_xor_b64 s[30:31], s[6:7], s[10:11]
	v_cvt_f32_u32_e32 v1, s30
	v_cvt_f32_u32_e32 v2, s31
	s_sub_u32 s6, 0, s30
	s_subb_u32 s7, 0, s31
	v_madmk_f32 v1, v2, 0x4f800000, v1
	v_rcp_f32_e32 v1, v1
	v_mul_f32_e32 v1, 0x5f7ffffc, v1
	v_mul_f32_e32 v2, 0x2f800000, v1
	v_trunc_f32_e32 v2, v2
	v_madmk_f32 v1, v2, 0xcf800000, v1
	v_cvt_u32_f32_e32 v2, v2
	v_cvt_u32_f32_e32 v1, v1
	v_readfirstlane_b32 s9, v2
	v_readfirstlane_b32 s33, v1
	s_mul_i32 s34, s6, s9
	s_mul_hi_u32 s36, s6, s33
	s_mul_i32 s35, s7, s33
	s_add_i32 s34, s36, s34
	s_add_i32 s34, s34, s35
	s_mul_i32 s37, s6, s33
	s_mul_hi_u32 s35, s33, s34
	s_mul_i32 s36, s33, s34
	s_mul_hi_u32 s33, s33, s37
	s_add_u32 s33, s33, s36
	s_addc_u32 s35, 0, s35
	s_mul_hi_u32 s38, s9, s37
	s_mul_i32 s37, s9, s37
	s_add_u32 s33, s33, s37
	s_mul_hi_u32 s36, s9, s34
	s_addc_u32 s33, s35, s38
	s_addc_u32 s35, s36, 0
	s_mul_i32 s34, s9, s34
	s_add_u32 s33, s33, s34
	s_addc_u32 s34, 0, s35
	v_add_co_u32_e32 v1, vcc, s33, v1
	s_cmp_lg_u64 vcc, 0
	s_addc_u32 s9, s9, s34
	v_readfirstlane_b32 s34, v1
	s_mul_i32 s33, s6, s9
	s_mul_hi_u32 s35, s6, s34
	s_add_i32 s33, s35, s33
	s_mul_i32 s7, s7, s34
	s_add_i32 s33, s33, s7
	s_mul_i32 s6, s6, s34
	s_mul_hi_u32 s35, s9, s6
	s_mul_i32 s36, s9, s6
	s_mul_i32 s38, s34, s33
	s_mul_hi_u32 s6, s34, s6
	s_mul_hi_u32 s37, s34, s33
	s_add_u32 s6, s6, s38
	s_addc_u32 s34, 0, s37
	s_add_u32 s6, s6, s36
	s_mul_hi_u32 s7, s9, s33
	s_addc_u32 s6, s34, s35
	s_addc_u32 s7, s7, 0
	s_mul_i32 s33, s9, s33
	s_add_u32 s6, s6, s33
	s_addc_u32 s7, 0, s7
	v_add_co_u32_e32 v1, vcc, s6, v1
	s_cmp_lg_u64 vcc, 0
	s_addc_u32 s9, s9, s7
	s_ashr_i32 s34, s23, 31
	s_add_u32 s6, s22, s34
	s_mov_b32 s35, s34
	s_addc_u32 s7, s23, s34
	s_xor_b64 s[36:37], s[6:7], s[34:35]
	v_readfirstlane_b32 s33, v1
	s_mul_i32 s7, s36, s9
	s_mul_hi_u32 s38, s36, s33
	s_mul_hi_u32 s6, s36, s9
	s_add_u32 s7, s38, s7
	s_addc_u32 s6, 0, s6
	s_mul_hi_u32 s39, s37, s33
	s_mul_i32 s33, s37, s33
	s_add_u32 s7, s7, s33
	s_mul_hi_u32 s38, s37, s9
	s_addc_u32 s6, s6, s39
	s_addc_u32 s7, s38, 0
	s_mul_i32 s9, s37, s9
	s_add_u32 s9, s6, s9
	s_addc_u32 s33, 0, s7
	s_mul_i32 s6, s30, s33
	s_mul_hi_u32 s7, s30, s9
	s_add_i32 s6, s7, s6
	s_mul_i32 s7, s31, s9
	s_add_i32 s38, s6, s7
	s_mul_i32 s7, s30, s9
	v_mov_b32_e32 v1, s7
	s_sub_i32 s6, s37, s38
	v_sub_co_u32_e32 v1, vcc, s36, v1
	s_cmp_lg_u64 vcc, 0
	s_subb_u32 s36, s6, s31
	v_subrev_co_u32_e64 v2, s[6:7], s30, v1
	s_cmp_lg_u64 s[6:7], 0
	s_subb_u32 s6, s36, 0
	s_cmp_ge_u32 s6, s31
	v_readfirstlane_b32 s36, v2
	s_cselect_b32 s7, -1, 0
	s_cmp_ge_u32 s36, s30
	s_cselect_b32 s36, -1, 0
	s_cmp_eq_u32 s6, s31
	s_cselect_b32 s6, s36, s7
	s_add_u32 s7, s9, 1
	s_addc_u32 s36, s33, 0
	s_add_u32 s39, s9, 2
	s_addc_u32 s40, s33, 0
	s_cmp_lg_u32 s6, 0
	s_cselect_b32 s6, s39, s7
	s_cselect_b32 s7, s40, s36
	s_cmp_lg_u64 vcc, 0
	s_subb_u32 s36, s37, s38
	s_cmp_ge_u32 s36, s31
	v_readfirstlane_b32 s38, v1
	s_cselect_b32 s37, -1, 0
	s_cmp_ge_u32 s38, s30
	s_cselect_b32 s30, -1, 0
	s_cmp_eq_u32 s36, s31
	s_cselect_b32 s30, s30, s37
	s_cmp_lg_u32 s30, 0
	s_cselect_b32 s7, s7, s33
	s_cselect_b32 s6, s6, s9
	s_xor_b64 s[10:11], s[34:35], s[10:11]
	s_xor_b64 s[6:7], s[6:7], s[10:11]
	s_sub_u32 s10, s6, s10
	s_cbranch_execnz .LBB21_3
.LBB21_2:
	v_cvt_f32_u32_e32 v1, s24
	s_sub_i32 s6, 0, s24
	v_rcp_iflag_f32_e32 v1, v1
	v_mul_f32_e32 v1, 0x4f7ffffe, v1
	v_cvt_u32_f32_e32 v1, v1
	v_readfirstlane_b32 s7, v1
	s_mul_i32 s6, s6, s7
	s_mul_hi_u32 s6, s7, s6
	s_add_i32 s7, s7, s6
	s_mul_hi_u32 s6, s22, s7
	s_mul_i32 s9, s6, s24
	s_sub_i32 s9, s22, s9
	s_add_i32 s7, s6, 1
	s_sub_i32 s10, s9, s24
	s_cmp_ge_u32 s9, s24
	s_cselect_b32 s6, s7, s6
	s_cselect_b32 s9, s10, s9
	s_add_i32 s7, s6, 1
	s_cmp_ge_u32 s9, s24
	s_cselect_b32 s10, s7, s6
.LBB21_3:
	s_mov_b32 s6, 0
	s_mov_b32 s7, s25
	s_cmp_lg_u64 s[6:7], 0
	s_cbranch_scc0 .LBB21_13
; %bb.4:
	s_ashr_i32 s6, s25, 31
	s_add_u32 s28, s24, s6
	s_mov_b32 s7, s6
	s_addc_u32 s29, s25, s6
	s_xor_b64 s[30:31], s[28:29], s[6:7]
	v_cvt_f32_u32_e32 v1, s30
	v_cvt_f32_u32_e32 v2, s31
	s_sub_u32 s9, 0, s30
	s_subb_u32 s11, 0, s31
	v_madmk_f32 v1, v2, 0x4f800000, v1
	v_rcp_f32_e32 v1, v1
	v_mul_f32_e32 v1, 0x5f7ffffc, v1
	v_mul_f32_e32 v2, 0x2f800000, v1
	v_trunc_f32_e32 v2, v2
	v_madmk_f32 v1, v2, 0xcf800000, v1
	v_cvt_u32_f32_e32 v2, v2
	v_cvt_u32_f32_e32 v1, v1
	v_readfirstlane_b32 s33, v2
	v_readfirstlane_b32 s34, v1
	s_mul_i32 s35, s9, s33
	s_mul_hi_u32 s37, s9, s34
	s_mul_i32 s36, s11, s34
	s_add_i32 s35, s37, s35
	s_add_i32 s35, s35, s36
	s_mul_i32 s38, s9, s34
	s_mul_hi_u32 s36, s34, s35
	s_mul_i32 s37, s34, s35
	s_mul_hi_u32 s34, s34, s38
	s_add_u32 s34, s34, s37
	s_addc_u32 s36, 0, s36
	s_mul_hi_u32 s39, s33, s38
	s_mul_i32 s38, s33, s38
	s_add_u32 s34, s34, s38
	s_mul_hi_u32 s37, s33, s35
	s_addc_u32 s34, s36, s39
	s_addc_u32 s36, s37, 0
	s_mul_i32 s35, s33, s35
	s_add_u32 s34, s34, s35
	s_addc_u32 s35, 0, s36
	v_add_co_u32_e32 v1, vcc, s34, v1
	s_cmp_lg_u64 vcc, 0
	s_addc_u32 s33, s33, s35
	v_readfirstlane_b32 s35, v1
	s_mul_i32 s34, s9, s33
	s_mul_hi_u32 s36, s9, s35
	s_add_i32 s34, s36, s34
	s_mul_i32 s11, s11, s35
	s_add_i32 s34, s34, s11
	s_mul_i32 s9, s9, s35
	s_mul_hi_u32 s36, s33, s9
	s_mul_i32 s37, s33, s9
	s_mul_i32 s39, s35, s34
	s_mul_hi_u32 s9, s35, s9
	s_mul_hi_u32 s38, s35, s34
	s_add_u32 s9, s9, s39
	s_addc_u32 s35, 0, s38
	s_add_u32 s9, s9, s37
	s_mul_hi_u32 s11, s33, s34
	s_addc_u32 s9, s35, s36
	s_addc_u32 s11, s11, 0
	s_mul_i32 s34, s33, s34
	s_add_u32 s9, s9, s34
	s_addc_u32 s11, 0, s11
	v_add_co_u32_e32 v1, vcc, s9, v1
	s_cmp_lg_u64 vcc, 0
	s_addc_u32 s9, s33, s11
	s_lshr_b32 s9, s9, 26
	s_mul_i32 s11, s31, s9
	s_mul_hi_u32 s33, s30, s9
	s_add_i32 s33, s33, s11
	s_mul_i32 s34, s30, s9
	s_sub_i32 s11, 0, s33
	v_sub_co_u32_e64 v1, s[34:35], 64, s34
	s_cmp_lg_u64 s[34:35], 0
	s_subb_u32 s11, s11, s31
	v_subrev_co_u32_e32 v2, vcc, s30, v1
	s_cmp_lg_u64 vcc, 0
	s_subb_u32 s11, s11, 0
	s_cmp_ge_u32 s11, s31
	v_readfirstlane_b32 s37, v2
	s_cselect_b32 s36, -1, 0
	s_cmp_ge_u32 s37, s30
	s_cselect_b32 s37, -1, 0
	s_cmp_eq_u32 s11, s31
	s_cselect_b32 s11, s37, s36
	s_add_u32 s36, s9, 1
	s_addc_u32 s37, 0, 0
	s_add_u32 s38, s9, 2
	s_addc_u32 s39, 0, 0
	s_cmp_lg_u32 s11, 0
	s_cselect_b32 s11, s38, s36
	s_cselect_b32 s36, s39, s37
	s_cmp_lg_u64 s[34:35], 0
	s_subb_u32 s33, 0, s33
	s_cmp_ge_u32 s33, s31
	v_readfirstlane_b32 s35, v1
	s_cselect_b32 s34, -1, 0
	s_cmp_ge_u32 s35, s30
	s_cselect_b32 s30, -1, 0
	s_cmp_eq_u32 s33, s31
	s_cselect_b32 s30, s30, s34
	s_cmp_lg_u32 s30, 0
	s_cselect_b32 s31, s36, 0
	s_cselect_b32 s30, s11, s9
	s_xor_b64 s[30:31], s[30:31], s[6:7]
	s_sub_u32 s30, s30, s6
	s_subb_u32 s31, s31, s6
	s_cbranch_execnz .LBB21_6
.LBB21_5:
	v_cvt_f32_u32_e32 v1, s24
	s_sub_i32 s6, 0, s24
	s_mov_b32 s31, 0
	v_rcp_iflag_f32_e32 v1, v1
	v_mul_f32_e32 v1, 0x4f7ffffe, v1
	v_cvt_u32_f32_e32 v1, v1
	v_readfirstlane_b32 s7, v1
	s_mul_i32 s6, s6, s7
	s_mul_hi_u32 s6, s7, s6
	s_add_i32 s7, s7, s6
	s_lshr_b32 s6, s7, 26
	s_mul_i32 s9, s6, s24
	s_sub_i32 s9, 64, s9
	s_add_i32 s7, s6, 1
	s_sub_i32 s11, s9, s24
	s_cmp_ge_u32 s9, s24
	s_cselect_b32 s6, s7, s6
	s_cselect_b32 s9, s11, s9
	s_add_i32 s7, s6, 1
	s_cmp_ge_u32 s9, s24
	s_cselect_b32 s30, s7, s6
.LBB21_6:
	v_cmp_gt_i64_e64 s[6:7], s[30:31], 1
	s_and_b64 s[6:7], s[6:7], exec
	s_cselect_b32 s6, s30, 1
	s_abs_i32 s7, s24
	v_cvt_f32_u32_e32 v1, s7
	s_sub_i32 s9, 0, s7
	v_rcp_iflag_f32_e32 v2, v1
	v_and_b32_e32 v1, 0x3ff, v0
	v_bfe_u32 v0, v0, 10, 10
	v_add_u32_e32 v0, s8, v0
	v_mul_f32_e32 v2, 0x4f7ffffe, v2
	v_cvt_u32_f32_e32 v2, v2
	s_ashr_i32 s8, s24, 31
	v_mul_lo_u32 v3, s9, v2
	v_mul_hi_u32 v3, v2, v3
	v_add_u32_e32 v2, v2, v3
	v_mul_hi_u32 v2, v1, v2
	v_mul_lo_u32 v3, v2, s7
	v_sub_u32_e32 v3, v1, v3
	v_add_u32_e32 v4, 1, v2
	v_cmp_le_u32_e32 vcc, s7, v3
	v_cndmask_b32_e32 v2, v2, v4, vcc
	v_subrev_u32_e32 v4, s7, v3
	v_cndmask_b32_e32 v3, v3, v4, vcc
	v_add_u32_e32 v4, 1, v2
	v_cmp_le_u32_e32 vcc, s7, v3
	v_cndmask_b32_e32 v2, v2, v4, vcc
	v_xor_b32_e32 v2, s8, v2
	v_subrev_u32_e32 v2, s8, v2
	v_mad_u64_u32 v[6:7], s[6:7], v0, s6, v[2:3]
	v_mov_b32_e32 v7, 0
	v_cmp_gt_i64_e32 vcc, s[20:21], v[6:7]
	s_and_saveexec_b64 s[6:7], vcc
	s_cbranch_execz .LBB21_221
; %bb.7:
	v_mul_lo_u32 v0, v2, s24
	v_sub_u32_e32 v12, v1, v0
	s_cmp_gt_i32 s10, 0
	v_mul_lo_u32 v0, v12, s10
	s_cselect_b64 s[20:21], -1, 0
	s_cmp_lt_i32 s10, 1
	v_mov_b32_e32 v4, 0xff7fffff
	v_mov_b32_e32 v5, 0xff7fffff
	;; [unrolled: 1-line block ×3, first 2 shown]
	buffer_store_dword v7, off, s[0:3], 0 offset:124
	buffer_store_dword v7, off, s[0:3], 0 offset:120
	;; [unrolled: 1-line block ×31, first 2 shown]
	buffer_store_dword v7, off, s[0:3], 0
	buffer_store_dword v7, off, s[0:3], 0 offset:252
	buffer_store_dword v7, off, s[0:3], 0 offset:248
	;; [unrolled: 1-line block ×32, first 2 shown]
	s_cbranch_scc1 .LBB21_85
; %bb.8:
	v_mad_u64_u32 v[4:5], s[8:9], s22, v6, 0
	s_bfe_i64 s[6:7], s[22:23], 0x200000
	v_mov_b32_e32 v8, v5
	v_mad_u64_u32 v[8:9], s[6:7], s7, v6, v[8:9]
	s_cmp_lg_u32 s10, 1
	v_mov_b32_e32 v5, v8
	s_cselect_b64 s[28:29], -1, 0
	s_cmp_eq_u32 s10, 1
	v_ashrrev_i32_e32 v1, 31, v0
	s_cbranch_scc1 .LBB21_14
; %bb.9:
	v_lshlrev_b64 v[8:9], 2, v[4:5]
	v_mov_b32_e32 v3, s13
	v_add_co_u32_e32 v8, vcc, s12, v8
	v_addc_co_u32_e32 v3, vcc, v3, v9, vcc
	v_lshlrev_b64 v[10:11], 2, v[0:1]
	v_add_co_u32_e32 v8, vcc, v8, v10
	v_addc_co_u32_e32 v9, vcc, v3, v11, vcc
	v_mov_b32_e32 v3, s15
	v_add_co_u32_e32 v10, vcc, s14, v10
	s_and_b32 s6, s10, 0x7ffffffe
	v_addc_co_u32_e32 v11, vcc, v3, v11, vcc
	v_mov_b32_e32 v3, 0
	v_mov_b32_e32 v13, 0x80
	s_mov_b32 s7, s6
.LBB21_10:                              ; =>This Inner Loop Header: Depth=1
	global_load_dwordx2 v[14:15], v[8:9], off
	global_load_dwordx2 v[16:17], v[10:11], off
	v_add_co_u32_e32 v10, vcc, 8, v10
	v_addc_co_u32_e32 v11, vcc, 0, v11, vcc
	v_add_co_u32_e32 v8, vcc, 8, v8
	s_add_i32 s7, s7, -2
	v_addc_co_u32_e32 v9, vcc, 0, v9, vcc
	s_cmp_lg_u32 s7, 0
	s_waitcnt vmcnt(1)
	buffer_store_dword v15, v3, s[0:3], 0 offen offset:4
	buffer_store_dword v14, v3, s[0:3], 0 offen
	s_waitcnt vmcnt(2)
	buffer_store_dword v17, v13, s[0:3], 0 offen offset:4
	buffer_store_dword v16, v13, s[0:3], 0 offen
	v_add_u32_e32 v3, 8, v3
	v_add_u32_e32 v13, 8, v13
	s_cbranch_scc1 .LBB21_10
; %bb.11:
	s_cmp_lg_u32 s6, s10
	s_cselect_b64 s[8:9], -1, 0
	s_and_b64 vcc, exec, s[8:9]
	s_cbranch_vccnz .LBB21_15
	s_branch .LBB21_17
.LBB21_12:
                                        ; implicit-def: $sgpr10_sgpr11
	s_branch .LBB21_2
.LBB21_13:
                                        ; implicit-def: $sgpr30_sgpr31
	s_branch .LBB21_5
.LBB21_14:
	s_mov_b32 s6, 0
	s_cbranch_execz .LBB21_17
.LBB21_15:
	s_lshl_b32 s7, s6, 2
	v_mov_b32_e32 v3, 0x80
	v_mov_b32_e32 v8, 0
	v_add_u32_e32 v3, s7, v3
	v_add_u32_e32 v10, s7, v8
	s_mov_b32 s7, 0
	s_sub_i32 s8, s10, s6
	v_lshlrev_b64 v[4:5], 2, v[4:5]
	v_lshlrev_b64 v[8:9], 2, v[0:1]
	s_lshl_b64 s[6:7], s[6:7], 2
	v_add_co_u32_e32 v1, vcc, v4, v8
	s_add_u32 s9, s12, s6
	v_addc_co_u32_e32 v5, vcc, v5, v9, vcc
	s_addc_u32 s11, s13, s7
	v_mov_b32_e32 v11, s11
	v_add_co_u32_e32 v4, vcc, s9, v1
	s_add_u32 s6, s14, s6
	v_addc_co_u32_e32 v5, vcc, v11, v5, vcc
	s_addc_u32 s7, s15, s7
	v_mov_b32_e32 v1, s7
	v_add_co_u32_e32 v8, vcc, s6, v8
	v_addc_co_u32_e32 v9, vcc, v1, v9, vcc
.LBB21_16:                              ; =>This Inner Loop Header: Depth=1
	global_load_dword v1, v[4:5], off
	global_load_dword v11, v[8:9], off
	v_add_co_u32_e32 v4, vcc, 4, v4
	v_addc_co_u32_e32 v5, vcc, 0, v5, vcc
	s_add_i32 s8, s8, -1
	v_add_co_u32_e32 v8, vcc, 4, v8
	v_addc_co_u32_e32 v9, vcc, 0, v9, vcc
	s_cmp_lg_u32 s8, 0
	s_waitcnt vmcnt(1)
	buffer_store_dword v1, v10, s[0:3], 0 offen
	s_waitcnt vmcnt(1)
	buffer_store_dword v11, v3, s[0:3], 0 offen
	v_add_u32_e32 v3, 4, v3
	v_add_u32_e32 v10, 4, v10
	s_cbranch_scc1 .LBB21_16
.LBB21_17:
	s_andn2_b64 vcc, exec, s[28:29]
	s_cbranch_vccnz .LBB21_25
; %bb.18:
	s_add_i32 s6, s10, -2
	s_lshr_b32 s11, s6, 1
	s_add_i32 s11, s11, 1
	s_cmp_lt_u32 s6, 6
	s_mov_b32 s12, 0
	s_cbranch_scc1 .LBB21_21
; %bb.19:
	s_and_b32 s13, s11, -4
	v_mov_b32_e32 v1, 0
	s_mov_b32 s14, 0xbfb8aa3b
	s_mov_b32 s15, 0x42ce8ed0
	;; [unrolled: 1-line block ×3, first 2 shown]
	v_mov_b32_e32 v3, 0x7f800000
.LBB21_20:                              ; =>This Inner Loop Header: Depth=1
	buffer_load_dword v13, v1, s[0:3], 0 offen offset:4
	buffer_load_dword v16, v1, s[0:3], 0 offen
	buffer_load_dword v17, v1, s[0:3], 0 offen offset:12
	buffer_load_dword v18, v1, s[0:3], 0 offen offset:8
	;; [unrolled: 1-line block ×6, first 2 shown]
	s_add_i32 s12, s12, 8
	s_add_i32 s13, s13, -4
	s_cmp_lg_u32 s13, 0
	s_waitcnt vmcnt(7)
	v_mul_f32_e32 v10, 0xbfb8aa3b, v13
	s_waitcnt vmcnt(6)
	v_mul_f32_e32 v11, 0xbfb8aa3b, v16
	v_rndne_f32_e32 v19, v10
	v_fma_f32 v20, v13, s14, -v10
	s_waitcnt vmcnt(5)
	v_mul_f32_e32 v14, 0xbfb8aa3b, v17
	v_rndne_f32_e32 v21, v11
	v_fma_f32 v22, v16, s14, -v11
	v_sub_f32_e32 v10, v10, v19
	v_fmac_f32_e32 v20, 0xb2a5705f, v13
	s_waitcnt vmcnt(4)
	v_mul_f32_e32 v15, 0xbfb8aa3b, v18
	v_rndne_f32_e32 v23, v14
	v_fma_f32 v24, v17, s14, -v14
	v_sub_f32_e32 v11, v11, v21
	v_fmac_f32_e32 v22, 0xb2a5705f, v16
	v_add_f32_e32 v10, v10, v20
	v_rndne_f32_e32 v25, v15
	v_fma_f32 v26, v18, s14, -v15
	v_cvt_i32_f32_e32 v19, v19
	v_sub_f32_e32 v14, v14, v23
	v_fmac_f32_e32 v24, 0xb2a5705f, v17
	v_add_f32_e32 v11, v11, v22
	v_exp_f32_e32 v10, v10
	v_cvt_i32_f32_e32 v21, v21
	v_sub_f32_e32 v15, v15, v25
	v_fmac_f32_e32 v26, 0xb2a5705f, v18
	v_add_f32_e32 v14, v14, v24
	v_exp_f32_e32 v11, v11
	v_cvt_i32_f32_e32 v23, v23
	v_add_f32_e32 v15, v15, v26
	v_exp_f32_e32 v14, v14
	v_cvt_i32_f32_e32 v25, v25
	v_exp_f32_e32 v15, v15
	v_ldexp_f32 v10, v10, v19
	v_cmp_nlt_f32_e32 vcc, s15, v13
	v_ldexp_f32 v11, v11, v21
	v_cndmask_b32_e32 v10, 0, v10, vcc
	v_cmp_nlt_f32_e32 vcc, s15, v16
	v_ldexp_f32 v14, v14, v23
	v_cndmask_b32_e32 v19, 0, v11, vcc
	;; [unrolled: 3-line block ×3, first 2 shown]
	v_cmp_nlt_f32_e32 vcc, s15, v18
	v_cndmask_b32_e32 v20, 0, v15, vcc
	v_cmp_ngt_f32_e32 vcc, s23, v13
	v_cndmask_b32_e32 v11, v3, v10, vcc
	v_cmp_ngt_f32_e32 vcc, s23, v16
	v_cndmask_b32_e32 v10, v3, v19, vcc
	v_pk_add_f32 v[10:11], v[10:11], 1.0 op_sel_hi:[1,0]
	v_div_scale_f32 v19, s[6:7], v10, v10, 1.0
	v_div_scale_f32 v21, s[6:7], v11, v11, 1.0
	v_rcp_f32_e32 v24, v19
	v_rcp_f32_e32 v25, v21
	v_cmp_ngt_f32_e32 vcc, s23, v17
	v_cndmask_b32_e32 v15, v3, v14, vcc
	v_cmp_ngt_f32_e32 vcc, s23, v18
	v_cndmask_b32_e32 v14, v3, v20, vcc
	v_fma_f32 v28, -v19, v24, 1.0
	v_pk_add_f32 v[14:15], v[14:15], 1.0 op_sel_hi:[1,0]
	v_div_scale_f32 v20, vcc, 1.0, v10, 1.0
	v_fma_f32 v29, -v21, v25, 1.0
	v_fmac_f32_e32 v24, v28, v24
	v_div_scale_f32 v22, s[6:7], 1.0, v11, 1.0
	v_div_scale_f32 v23, s[8:9], v14, v14, 1.0
	v_fmac_f32_e32 v25, v29, v25
	v_mul_f32_e32 v28, v20, v24
	v_rcp_f32_e32 v26, v23
	v_mul_f32_e32 v29, v22, v25
	v_fma_f32 v31, -v19, v28, v20
	v_fma_f32 v32, -v21, v29, v22
	v_fmac_f32_e32 v28, v31, v24
	v_fmac_f32_e32 v29, v32, v25
	v_fma_f32 v19, -v19, v28, v20
	v_fma_f32 v20, -v21, v29, v22
	v_div_fmas_f32 v19, v19, v24, v28
	s_mov_b64 vcc, s[6:7]
	v_fma_f32 v30, -v23, v26, 1.0
	v_div_fixup_f32 v10, v19, v10, 1.0
	v_div_fmas_f32 v19, v20, v25, v29
	v_cmp_o_f32_e32 vcc, v16, v16
	v_div_scale_f32 v27, s[8:9], 1.0, v14, 1.0
	v_fmac_f32_e32 v26, v30, v26
	v_div_fixup_f32 v11, v19, v11, 1.0
	v_cndmask_b32_e32 v10, 0, v10, vcc
	v_cmp_o_f32_e32 vcc, v13, v13
	v_mul_f32_e32 v30, v27, v26
	v_cndmask_b32_e32 v11, 0, v11, vcc
	buffer_store_dword v10, v1, s[0:3], 0 offen
	buffer_store_dword v11, v1, s[0:3], 0 offen offset:4
	v_div_scale_f32 v10, s[6:7], v15, v15, 1.0
	v_fma_f32 v33, -v23, v30, v27
	v_rcp_f32_e32 v11, v10
	v_fmac_f32_e32 v30, v33, v26
	v_fma_f32 v21, -v23, v30, v27
	s_mov_b64 vcc, s[8:9]
	v_div_fmas_f32 v13, v21, v26, v30
	v_div_fixup_f32 v13, v13, v14, 1.0
	v_fma_f32 v14, -v10, v11, 1.0
	v_fmac_f32_e32 v11, v14, v11
	v_div_scale_f32 v14, vcc, 1.0, v15, 1.0
	v_mul_f32_e32 v16, v14, v11
	v_fma_f32 v19, -v10, v16, v14
	v_fmac_f32_e32 v16, v19, v11
	v_fma_f32 v10, -v10, v16, v14
	v_div_fmas_f32 v10, v10, v11, v16
	s_waitcnt vmcnt(4)
	v_mul_f32_e32 v11, 0xbfb8aa3b, v9
	v_rndne_f32_e32 v14, v11
	v_sub_f32_e32 v16, v11, v14
	v_fma_f32 v11, v9, s14, -v11
	v_fmac_f32_e32 v11, 0xb2a5705f, v9
	v_add_f32_e32 v11, v16, v11
	v_exp_f32_e32 v11, v11
	v_cvt_i32_f32_e32 v14, v14
	v_div_fixup_f32 v10, v10, v15, 1.0
	v_cmp_o_f32_e32 vcc, v17, v17
	v_cndmask_b32_e32 v15, 0, v10, vcc
	v_ldexp_f32 v10, v11, v14
	v_mul_f32_e32 v11, 0xbfb8aa3b, v8
	v_rndne_f32_e32 v14, v11
	v_sub_f32_e32 v16, v11, v14
	v_fma_f32 v11, v8, s14, -v11
	v_fmac_f32_e32 v11, 0xb2a5705f, v8
	v_add_f32_e32 v11, v16, v11
	v_exp_f32_e32 v16, v11
	v_cvt_i32_f32_e32 v14, v14
	v_cmp_nlt_f32_e32 vcc, s15, v9
	v_cndmask_b32_e32 v10, 0, v10, vcc
	v_cmp_ngt_f32_e32 vcc, s23, v9
	v_cndmask_b32_e32 v11, v3, v10, vcc
	v_ldexp_f32 v10, v16, v14
	v_cmp_nlt_f32_e32 vcc, s15, v8
	v_cndmask_b32_e32 v10, 0, v10, vcc
	v_cmp_ngt_f32_e32 vcc, s23, v8
	v_cndmask_b32_e32 v10, v3, v10, vcc
	v_pk_add_f32 v[10:11], v[10:11], 1.0 op_sel_hi:[1,0]
	v_div_scale_f32 v14, s[6:7], v10, v10, 1.0
	v_rcp_f32_e32 v16, v14
	v_cmp_o_f32_e32 vcc, v18, v18
	v_cndmask_b32_e32 v13, 0, v13, vcc
	buffer_store_dword v13, v1, s[0:3], 0 offen offset:8
	buffer_store_dword v15, v1, s[0:3], 0 offen offset:12
	v_fma_f32 v13, -v14, v16, 1.0
	v_fmac_f32_e32 v16, v13, v16
	v_div_scale_f32 v13, vcc, 1.0, v10, 1.0
	v_mul_f32_e32 v15, v13, v16
	v_fma_f32 v17, -v14, v15, v13
	v_fmac_f32_e32 v15, v17, v16
	v_fma_f32 v13, -v14, v15, v13
	v_div_scale_f32 v14, s[6:7], v11, v11, 1.0
	v_rcp_f32_e32 v17, v14
	v_div_fmas_f32 v13, v13, v16, v15
	v_div_fixup_f32 v13, v13, v10, 1.0
	v_fma_f32 v10, -v14, v17, 1.0
	v_fmac_f32_e32 v17, v10, v17
	v_div_scale_f32 v10, vcc, 1.0, v11, 1.0
	v_mul_f32_e32 v15, v10, v17
	v_fma_f32 v16, -v14, v15, v10
	v_fmac_f32_e32 v15, v16, v17
	v_fma_f32 v10, -v14, v15, v10
	s_waitcnt vmcnt(4)
	v_mul_f32_e32 v14, 0xbfb8aa3b, v5
	v_div_fmas_f32 v10, v10, v17, v15
	v_rndne_f32_e32 v15, v14
	v_sub_f32_e32 v16, v14, v15
	v_fma_f32 v14, v5, s14, -v14
	v_fmac_f32_e32 v14, 0xb2a5705f, v5
	v_add_f32_e32 v14, v16, v14
	v_exp_f32_e32 v14, v14
	v_cvt_i32_f32_e32 v15, v15
	v_div_fixup_f32 v10, v10, v11, 1.0
	v_cmp_o_f32_e32 vcc, v9, v9
	v_mul_f32_e32 v11, 0xbfb8aa3b, v4
	v_cndmask_b32_e32 v9, 0, v10, vcc
	v_ldexp_f32 v10, v14, v15
	v_rndne_f32_e32 v14, v11
	v_sub_f32_e32 v15, v11, v14
	v_fma_f32 v11, v4, s14, -v11
	v_fmac_f32_e32 v11, 0xb2a5705f, v4
	v_add_f32_e32 v11, v15, v11
	v_exp_f32_e32 v15, v11
	v_cvt_i32_f32_e32 v14, v14
	v_cmp_nlt_f32_e32 vcc, s15, v5
	v_cndmask_b32_e32 v10, 0, v10, vcc
	v_cmp_ngt_f32_e32 vcc, s23, v5
	v_cndmask_b32_e32 v11, v3, v10, vcc
	v_ldexp_f32 v10, v15, v14
	v_cmp_nlt_f32_e32 vcc, s15, v4
	v_cndmask_b32_e32 v10, 0, v10, vcc
	v_cmp_ngt_f32_e32 vcc, s23, v4
	v_cndmask_b32_e32 v10, v3, v10, vcc
	v_pk_add_f32 v[10:11], v[10:11], 1.0 op_sel_hi:[1,0]
	v_div_scale_f32 v14, s[6:7], v10, v10, 1.0
	v_rcp_f32_e32 v15, v14
	v_cmp_o_f32_e32 vcc, v8, v8
	v_cndmask_b32_e32 v8, 0, v13, vcc
	buffer_store_dword v8, v1, s[0:3], 0 offen offset:16
	buffer_store_dword v9, v1, s[0:3], 0 offen offset:20
	v_fma_f32 v8, -v14, v15, 1.0
	v_fmac_f32_e32 v15, v8, v15
	v_div_scale_f32 v8, vcc, 1.0, v10, 1.0
	v_mul_f32_e32 v9, v8, v15
	v_fma_f32 v13, -v14, v9, v8
	v_fmac_f32_e32 v9, v13, v15
	v_div_scale_f32 v13, s[6:7], v11, v11, 1.0
	v_fma_f32 v8, -v14, v9, v8
	v_rcp_f32_e32 v14, v13
	v_div_fmas_f32 v8, v8, v15, v9
	v_div_fixup_f32 v8, v8, v10, 1.0
	v_fma_f32 v9, -v13, v14, 1.0
	v_fmac_f32_e32 v14, v9, v14
	v_div_scale_f32 v9, vcc, 1.0, v11, 1.0
	v_mul_f32_e32 v10, v9, v14
	v_fma_f32 v15, -v13, v10, v9
	v_fmac_f32_e32 v10, v15, v14
	v_fma_f32 v9, -v13, v10, v9
	v_div_fmas_f32 v9, v9, v14, v10
	v_div_fixup_f32 v9, v9, v11, 1.0
	v_cmp_o_f32_e32 vcc, v5, v5
	v_cndmask_b32_e32 v5, 0, v9, vcc
	v_cmp_o_f32_e32 vcc, v4, v4
	v_cndmask_b32_e32 v4, 0, v8, vcc
	buffer_store_dword v4, v1, s[0:3], 0 offen offset:24
	buffer_store_dword v5, v1, s[0:3], 0 offen offset:28
	v_add_u32_e32 v1, 32, v1
	s_cbranch_scc1 .LBB21_20
.LBB21_21:
	s_and_b32 s8, s11, 3
	s_cmp_eq_u32 s8, 0
	s_cbranch_scc1 .LBB21_24
; %bb.22:
	s_lshl_b32 s6, s12, 2
	v_mov_b32_e32 v1, 0
	v_add_u32_e32 v1, s6, v1
	s_mov_b32 s9, 0xbfb8aa3b
	s_mov_b32 s11, 0x42ce8ed0
	;; [unrolled: 1-line block ×3, first 2 shown]
	v_mov_b32_e32 v3, 0x7f800000
.LBB21_23:                              ; =>This Inner Loop Header: Depth=1
	buffer_load_dword v8, v1, s[0:3], 0 offen offset:4
	buffer_load_dword v9, v1, s[0:3], 0 offen
	s_add_i32 s8, s8, -1
	s_cmp_lg_u32 s8, 0
	s_waitcnt vmcnt(1)
	v_mul_f32_e32 v4, 0xbfb8aa3b, v8
	s_waitcnt vmcnt(0)
	v_mul_f32_e32 v5, 0xbfb8aa3b, v9
	v_rndne_f32_e32 v10, v4
	v_fma_f32 v11, v8, s9, -v4
	v_rndne_f32_e32 v13, v5
	v_fma_f32 v14, v9, s9, -v5
	v_sub_f32_e32 v4, v4, v10
	v_fmac_f32_e32 v11, 0xb2a5705f, v8
	v_sub_f32_e32 v5, v5, v13
	v_fmac_f32_e32 v14, 0xb2a5705f, v9
	v_add_f32_e32 v4, v4, v11
	v_cvt_i32_f32_e32 v10, v10
	v_add_f32_e32 v5, v5, v14
	v_exp_f32_e32 v4, v4
	v_cvt_i32_f32_e32 v13, v13
	v_exp_f32_e32 v5, v5
	v_cmp_nlt_f32_e32 vcc, s11, v8
	v_ldexp_f32 v4, v4, v10
	v_cndmask_b32_e32 v4, 0, v4, vcc
	v_ldexp_f32 v5, v5, v13
	v_cmp_nlt_f32_e32 vcc, s11, v9
	v_cndmask_b32_e32 v10, 0, v5, vcc
	v_cmp_ngt_f32_e32 vcc, s12, v8
	v_cndmask_b32_e32 v5, v3, v4, vcc
	v_cmp_ngt_f32_e32 vcc, s12, v9
	v_cndmask_b32_e32 v4, v3, v10, vcc
	v_pk_add_f32 v[4:5], v[4:5], 1.0 op_sel_hi:[1,0]
	v_div_scale_f32 v10, s[6:7], v4, v4, 1.0
	v_div_scale_f32 v13, s[6:7], v5, v5, 1.0
	v_rcp_f32_e32 v14, v10
	v_rcp_f32_e32 v15, v13
	v_div_scale_f32 v11, vcc, 1.0, v4, 1.0
	v_fma_f32 v17, -v10, v14, 1.0
	v_fma_f32 v18, -v13, v15, 1.0
	v_fmac_f32_e32 v14, v17, v14
	v_div_scale_f32 v16, s[6:7], 1.0, v5, 1.0
	v_fmac_f32_e32 v15, v18, v15
	v_mul_f32_e32 v17, v11, v14
	v_mul_f32_e32 v18, v16, v15
	v_fma_f32 v19, -v10, v17, v11
	v_fma_f32 v20, -v13, v18, v16
	v_fmac_f32_e32 v17, v19, v14
	v_fmac_f32_e32 v18, v20, v15
	v_fma_f32 v10, -v10, v17, v11
	v_fma_f32 v11, -v13, v18, v16
	v_div_fmas_f32 v10, v10, v14, v17
	s_mov_b64 vcc, s[6:7]
	v_div_fixup_f32 v4, v10, v4, 1.0
	v_div_fmas_f32 v10, v11, v15, v18
	v_cmp_o_f32_e32 vcc, v9, v9
	v_div_fixup_f32 v5, v10, v5, 1.0
	v_cndmask_b32_e32 v4, 0, v4, vcc
	v_cmp_o_f32_e32 vcc, v8, v8
	v_cndmask_b32_e32 v5, 0, v5, vcc
	buffer_store_dword v4, v1, s[0:3], 0 offen
	buffer_store_dword v5, v1, s[0:3], 0 offen offset:4
	v_add_u32_e32 v1, 8, v1
	s_cbranch_scc1 .LBB21_23
.LBB21_24:
	s_and_b32 s9, s10, 0x7ffffffe
	s_cmp_lg_u32 s9, s10
	s_cselect_b64 s[6:7], -1, 0
	s_and_b64 vcc, exec, s[6:7]
	s_cbranch_vccnz .LBB21_26
	s_branch .LBB21_30
.LBB21_25:
	s_mov_b32 s9, 0
	s_cbranch_execz .LBB21_30
.LBB21_26:
	s_lshl_b32 s6, s9, 2
	v_mov_b32_e32 v1, 0
	s_sub_i32 s8, s10, s9
	v_add_u32_e32 v1, s6, v1
	s_mov_b32 s9, 0xbfb8aa3b
	s_mov_b32 s11, 0x42ce8ed0
	;; [unrolled: 1-line block ×3, first 2 shown]
	v_mov_b32_e32 v3, 0x7f800000
	s_branch .LBB21_28
.LBB21_27:                              ;   in Loop: Header=BB21_28 Depth=1
	s_or_b64 exec, exec, s[6:7]
	s_add_i32 s8, s8, -1
	buffer_store_dword v5, v1, s[0:3], 0 offen
	s_cmp_lg_u32 s8, 0
	v_add_u32_e32 v1, 4, v1
	s_cbranch_scc0 .LBB21_30
.LBB21_28:                              ; =>This Inner Loop Header: Depth=1
	buffer_load_dword v4, v1, s[0:3], 0 offen
	v_mov_b32_e32 v5, 0
	s_waitcnt vmcnt(0)
	v_cmp_o_f32_e32 vcc, v4, v4
	s_and_saveexec_b64 s[6:7], vcc
	s_cbranch_execz .LBB21_27
; %bb.29:                               ;   in Loop: Header=BB21_28 Depth=1
	v_mul_f32_e32 v5, 0xbfb8aa3b, v4
	v_rndne_f32_e32 v8, v5
	v_sub_f32_e32 v9, v5, v8
	v_fma_f32 v5, v4, s9, -v5
	v_fmac_f32_e32 v5, 0xb2a5705f, v4
	v_add_f32_e32 v5, v9, v5
	v_cvt_i32_f32_e32 v8, v8
	v_exp_f32_e32 v5, v5
	v_cmp_nlt_f32_e32 vcc, s11, v4
	v_ldexp_f32 v5, v5, v8
	v_cndmask_b32_e32 v5, 0, v5, vcc
	v_cmp_ngt_f32_e32 vcc, s12, v4
	v_cndmask_b32_e32 v4, v3, v5, vcc
	v_add_f32_e32 v4, 1.0, v4
	v_div_scale_f32 v5, s[14:15], v4, v4, 1.0
	v_rcp_f32_e32 v8, v5
	v_fma_f32 v9, -v5, v8, 1.0
	v_fmac_f32_e32 v8, v9, v8
	v_div_scale_f32 v9, vcc, 1.0, v4, 1.0
	v_mul_f32_e32 v10, v9, v8
	v_fma_f32 v11, -v5, v10, v9
	v_fmac_f32_e32 v10, v11, v8
	v_fma_f32 v5, -v5, v10, v9
	v_div_fmas_f32 v5, v5, v8, v10
	v_div_fixup_f32 v5, v5, v4, 1.0
	s_branch .LBB21_27
.LBB21_30:
	s_and_b64 vcc, exec, s[28:29]
	s_cbranch_vccz .LBB21_38
; %bb.31:
	s_add_i32 s7, s10, -2
	s_lshr_b32 s6, s7, 1
	s_add_i32 s6, s6, 1
	s_cmp_lt_u32 s7, 14
	s_mov_b32 s7, 0
	s_cbranch_scc1 .LBB21_34
; %bb.32:
	s_and_b32 s8, s6, -8
	v_mov_b32_e32 v1, 0
	v_mov_b32_e32 v3, 0x80
.LBB21_33:                              ; =>This Inner Loop Header: Depth=1
	buffer_load_dword v4, v1, s[0:3], 0 offen
	buffer_load_dword v5, v1, s[0:3], 0 offen offset:4
	buffer_load_dword v8, v1, s[0:3], 0 offen offset:8
	;; [unrolled: 1-line block ×7, first 2 shown]
	buffer_load_dword v16, v3, s[0:3], 0 offen
	buffer_load_dword v17, v3, s[0:3], 0 offen offset:4
	buffer_load_dword v18, v3, s[0:3], 0 offen offset:8
	;; [unrolled: 1-line block ×23, first 2 shown]
	s_add_i32 s7, s7, 16
	s_add_i32 s8, s8, -8
	v_add_u32_e32 v1, 64, v1
	s_cmp_lg_u32 s8, 0
	s_waitcnt vmcnt(22)
	v_pk_add_f32 v[4:5], v[4:5], v[16:17]
	s_waitcnt vmcnt(20)
	v_pk_add_f32 v[8:9], v[8:9], v[18:19]
	;; [unrolled: 2-line block ×8, first 2 shown]
	buffer_store_dword v4, v3, s[0:3], 0 offen
	buffer_store_dword v5, v3, s[0:3], 0 offen offset:4
	buffer_store_dword v8, v3, s[0:3], 0 offen offset:8
	;; [unrolled: 1-line block ×15, first 2 shown]
	v_add_u32_e32 v3, 64, v3
	s_cbranch_scc1 .LBB21_33
.LBB21_34:
	s_and_b32 s6, s6, 7
	s_cmp_eq_u32 s6, 0
	s_cbranch_scc1 .LBB21_37
; %bb.35:
	s_lshl_b32 s7, s7, 2
	v_mov_b32_e32 v1, 0x80
	v_mov_b32_e32 v3, 0
	v_add_u32_e32 v1, s7, v1
	v_add_u32_e32 v3, s7, v3
.LBB21_36:                              ; =>This Inner Loop Header: Depth=1
	buffer_load_dword v4, v3, s[0:3], 0 offen
	buffer_load_dword v5, v3, s[0:3], 0 offen offset:4
	buffer_load_dword v8, v1, s[0:3], 0 offen
	buffer_load_dword v9, v1, s[0:3], 0 offen offset:4
	s_add_i32 s6, s6, -1
	s_cmp_lg_u32 s6, 0
	v_add_u32_e32 v3, 8, v3
	s_waitcnt vmcnt(0)
	v_pk_add_f32 v[4:5], v[4:5], v[8:9]
	buffer_store_dword v4, v1, s[0:3], 0 offen
	buffer_store_dword v5, v1, s[0:3], 0 offen offset:4
	v_add_u32_e32 v1, 8, v1
	s_cbranch_scc1 .LBB21_36
.LBB21_37:
	s_and_b32 s8, s10, 0x7ffffffe
	s_cmp_lg_u32 s8, s10
	s_cselect_b64 s[6:7], -1, 0
	s_and_b64 vcc, exec, s[6:7]
	s_cbranch_vccnz .LBB21_39
	s_branch .LBB21_41
.LBB21_38:
	s_mov_b32 s8, 0
	s_cbranch_execz .LBB21_41
.LBB21_39:
	s_lshl_b32 s7, s8, 2
	v_mov_b32_e32 v1, 0x80
	v_mov_b32_e32 v3, 0
	s_sub_i32 s6, s10, s8
	v_add_u32_e32 v1, s7, v1
	v_add_u32_e32 v3, s7, v3
.LBB21_40:                              ; =>This Inner Loop Header: Depth=1
	buffer_load_dword v4, v3, s[0:3], 0 offen
	buffer_load_dword v5, v1, s[0:3], 0 offen
	s_add_i32 s6, s6, -1
	s_cmp_eq_u32 s6, 0
	v_add_u32_e32 v3, 4, v3
	s_waitcnt vmcnt(0)
	v_add_f32_e32 v4, v4, v5
	buffer_store_dword v4, v1, s[0:3], 0 offen
	v_add_u32_e32 v1, 4, v1
	s_cbranch_scc0 .LBB21_40
.LBB21_41:
	s_add_i32 s6, s10, -1
	s_cmp_lt_u32 s6, 7
	v_mov_b32_e32 v5, 0xff7fffff
	s_cbranch_scc1 .LBB21_76
; %bb.42:
	s_and_b32 s11, s10, 0x7ffffff8
	v_mov_b32_e32 v1, 0x80
	s_mov_b32 s12, 0
	v_mov_b32_e32 v4, 0xff7fffff
	v_mov_b32_e32 v5, 0xff7fffff
	s_branch .LBB21_45
.LBB21_43:                              ;   in Loop: Header=BB21_45 Depth=1
	s_or_b64 exec, exec, s[8:9]
	v_mov_b32_e32 v5, v8
	v_mov_b32_e32 v4, v3
.LBB21_44:                              ;   in Loop: Header=BB21_45 Depth=1
	s_or_b64 exec, exec, s[6:7]
	s_add_i32 s12, s12, 8
	s_cmp_eq_u32 s11, s12
	v_add_u32_e32 v1, 32, v1
	s_cbranch_scc1 .LBB21_77
.LBB21_45:                              ; =>This Inner Loop Header: Depth=1
	buffer_load_dword v3, v1, s[0:3], 0 offen
	v_mov_b32_e32 v8, v4
	s_waitcnt vmcnt(0)
	v_cmp_ngt_f32_e32 vcc, v3, v4
	s_and_saveexec_b64 s[6:7], vcc
	s_cbranch_execz .LBB21_49
; %bb.46:                               ;   in Loop: Header=BB21_45 Depth=1
	v_cmp_gt_f32_e32 vcc, v3, v5
	s_and_saveexec_b64 s[8:9], vcc
; %bb.47:                               ;   in Loop: Header=BB21_45 Depth=1
	v_mov_b32_e32 v5, v3
; %bb.48:                               ;   in Loop: Header=BB21_45 Depth=1
	s_or_b64 exec, exec, s[8:9]
	v_mov_b32_e32 v8, v5
	v_mov_b32_e32 v3, v4
.LBB21_49:                              ;   in Loop: Header=BB21_45 Depth=1
	s_or_b64 exec, exec, s[6:7]
	buffer_load_dword v4, v1, s[0:3], 0 offen offset:4
	v_mov_b32_e32 v5, v3
	s_waitcnt vmcnt(0)
	v_cmp_ngt_f32_e32 vcc, v4, v3
	s_and_saveexec_b64 s[6:7], vcc
	s_cbranch_execz .LBB21_53
; %bb.50:                               ;   in Loop: Header=BB21_45 Depth=1
	v_cmp_gt_f32_e32 vcc, v4, v8
	s_and_saveexec_b64 s[8:9], vcc
; %bb.51:                               ;   in Loop: Header=BB21_45 Depth=1
	v_mov_b32_e32 v8, v4
; %bb.52:                               ;   in Loop: Header=BB21_45 Depth=1
	s_or_b64 exec, exec, s[8:9]
	v_mov_b32_e32 v5, v8
	v_mov_b32_e32 v4, v3
.LBB21_53:                              ;   in Loop: Header=BB21_45 Depth=1
	s_or_b64 exec, exec, s[6:7]
	buffer_load_dword v3, v1, s[0:3], 0 offen offset:8
	;; [unrolled: 17-line block ×7, first 2 shown]
	v_mov_b32_e32 v5, v3
	s_waitcnt vmcnt(0)
	v_cmp_ngt_f32_e32 vcc, v4, v3
	s_and_saveexec_b64 s[6:7], vcc
	s_cbranch_execz .LBB21_44
; %bb.74:                               ;   in Loop: Header=BB21_45 Depth=1
	v_cmp_gt_f32_e32 vcc, v4, v8
	s_and_saveexec_b64 s[8:9], vcc
	s_cbranch_execz .LBB21_43
; %bb.75:                               ;   in Loop: Header=BB21_45 Depth=1
	v_mov_b32_e32 v8, v4
	s_branch .LBB21_43
.LBB21_76:
	s_mov_b32 s11, 0
	v_mov_b32_e32 v4, 0xff7fffff
.LBB21_77:
	s_and_b32 s12, s10, 7
	s_cmp_eq_u32 s12, 0
	s_cbranch_scc1 .LBB21_84
; %bb.78:
	s_lshl_b32 s6, s11, 2
	v_mov_b32_e32 v1, 0x80
	v_add_u32_e32 v1, s6, v1
	s_branch .LBB21_81
.LBB21_79:                              ;   in Loop: Header=BB21_81 Depth=1
	s_or_b64 exec, exec, s[8:9]
	v_mov_b32_e32 v8, v5
	v_mov_b32_e32 v3, v4
.LBB21_80:                              ;   in Loop: Header=BB21_81 Depth=1
	s_or_b64 exec, exec, s[6:7]
	s_add_i32 s12, s12, -1
	s_cmp_lg_u32 s12, 0
	v_add_u32_e32 v1, 4, v1
	v_mov_b32_e32 v4, v3
	v_mov_b32_e32 v5, v8
	s_cbranch_scc0 .LBB21_84
.LBB21_81:                              ; =>This Inner Loop Header: Depth=1
	buffer_load_dword v3, v1, s[0:3], 0 offen
	v_mov_b32_e32 v8, v4
	s_waitcnt vmcnt(0)
	v_cmp_ngt_f32_e32 vcc, v3, v4
	s_and_saveexec_b64 s[6:7], vcc
	s_cbranch_execz .LBB21_80
; %bb.82:                               ;   in Loop: Header=BB21_81 Depth=1
	v_cmp_gt_f32_e32 vcc, v3, v5
	s_and_saveexec_b64 s[8:9], vcc
	s_cbranch_execz .LBB21_79
; %bb.83:                               ;   in Loop: Header=BB21_81 Depth=1
	v_mov_b32_e32 v5, v3
	s_branch .LBB21_79
.LBB21_84:
	buffer_load_dword v1, off, s[0:3], 0 offset:128
.LBB21_85:
	s_bfe_i64 s[6:7], s[24:25], 0x200000
	s_sub_u32 s12, s6, s26
	s_subb_u32 s13, s7, s27
	v_cmp_lt_i64_e64 s[6:7], s[12:13], 1
	s_and_b64 vcc, exec, s[6:7]
	v_mbcnt_lo_u32_b32 v3, -1, 0
	s_cbranch_vccnz .LBB21_123
; %bb.86:
	s_abs_i32 s11, s10
	v_cvt_f32_u32_e32 v8, s11
	v_add_f32_e32 v4, v5, v4
	v_bfrev_b32_e32 v9, 0.5
	s_sub_i32 s6, 0, s11
	v_rcp_iflag_f32_e32 v5, v8
	v_mbcnt_hi_u32_b32 v8, -1, v3
	v_mov_b32_e32 v10, 0x7c
	s_ashr_i32 s23, s10, 31
	v_mul_f32_e32 v5, 0x4f7ffffe, v5
	v_cvt_u32_f32_e32 v11, v5
	v_lshl_or_b32 v5, v8, 2, v9
	s_mov_b64 s[14:15], 0
	v_lshl_or_b32 v8, v8, 2, v10
	v_mul_lo_u32 v9, s6, v11
	v_mul_hi_u32 v9, v11, v9
	v_add_u32_e32 v9, v11, v9
	v_mov_b32_e32 v10, 0x7f7fffff
	s_branch .LBB21_89
.LBB21_87:                              ;   in Loop: Header=BB21_89 Depth=1
	s_or_b64 exec, exec, s[6:7]
.LBB21_88:                              ;   in Loop: Header=BB21_89 Depth=1
	s_waitcnt lgkmcnt(0)
	v_sub_u32_e32 v14, 0, v11
	v_ashrrev_i32_e32 v13, 31, v11
	v_max_i32_e32 v11, v11, v14
	v_mul_hi_u32 v14, v11, v9
	v_mul_lo_u32 v15, v14, s11
	v_sub_u32_e32 v11, v11, v15
	v_add_u32_e32 v15, 1, v14
	v_cmp_le_u32_e32 vcc, s11, v11
	v_cndmask_b32_e32 v14, v14, v15, vcc
	v_subrev_u32_e32 v15, s11, v11
	v_cndmask_b32_e32 v11, v11, v15, vcc
	v_add_u32_e32 v15, 1, v14
	v_cmp_le_u32_e32 vcc, s11, v11
	v_xor_b32_e32 v13, s23, v13
	v_cndmask_b32_e32 v11, v14, v15, vcc
	v_xor_b32_e32 v11, v11, v13
	s_add_u32 s14, s14, 1
	v_sub_u32_e32 v11, v11, v13
	s_addc_u32 s15, s15, 0
	v_cmp_eq_u32_e32 vcc, v12, v11
	v_pk_mov_b32 v[14:15], s[14:15], s[14:15] op_sel:[0,1]
	s_waitcnt vmcnt(0)
	v_cndmask_b32_e32 v1, v1, v10, vcc
	v_cndmask_b32_e32 v4, v4, v10, vcc
	v_cmp_le_u64_e32 vcc, s[12:13], v[14:15]
	s_cbranch_vccnz .LBB21_123
.LBB21_89:                              ; =>This Inner Loop Header: Depth=1
	s_cmp_lt_i32 s24, 16
	s_cbranch_scc1 .LBB21_95
; %bb.90:                               ;   in Loop: Header=BB21_89 Depth=1
	s_cmp_lt_i32 s24, 32
	s_cbranch_scc1 .LBB21_96
; %bb.91:                               ;   in Loop: Header=BB21_89 Depth=1
	;; [unrolled: 3-line block ×3, first 2 shown]
	s_cmp_eq_u32 s24, 64
	v_mov_b32_e32 v11, v0
	s_cbranch_scc0 .LBB21_94
; %bb.93:                               ;   in Loop: Header=BB21_89 Depth=1
	s_nop 0
	v_mov_b32_dpp v11, v0 quad_perm:[1,0,3,2] row_mask:0xf bank_mask:0xf
	v_mov_b32_dpp v13, v4 quad_perm:[1,0,3,2] row_mask:0xf bank_mask:0xf
	v_cmp_eq_f32_e64 s[6:7], v4, v13
	v_cmp_lt_i32_e64 s[8:9], v0, v11
	v_cmp_lt_f32_e32 vcc, v4, v13
	s_and_b64 s[6:7], s[6:7], s[8:9]
	s_or_b64 vcc, vcc, s[6:7]
	v_cndmask_b32_e32 v13, v13, v4, vcc
	v_cndmask_b32_e32 v11, v11, v0, vcc
	s_nop 0
	v_mov_b32_dpp v15, v13 quad_perm:[2,3,0,1] row_mask:0xf bank_mask:0xf
	v_mov_b32_dpp v14, v11 quad_perm:[2,3,0,1] row_mask:0xf bank_mask:0xf
	v_cmp_eq_f32_e32 vcc, v13, v15
	v_cmp_lt_i32_e64 s[6:7], v11, v14
	s_and_b64 vcc, vcc, s[6:7]
	v_cmp_lt_f32_e64 s[6:7], v13, v15
	v_cndmask_b32_e32 v16, v15, v13, vcc
	s_or_b64 vcc, s[6:7], vcc
	v_cndmask_b32_e64 v13, v16, v13, s[6:7]
	v_cndmask_b32_e32 v11, v14, v11, vcc
	s_nop 0
	v_mov_b32_dpp v15, v13 row_ror:4 row_mask:0xf bank_mask:0xf
	v_mov_b32_dpp v14, v11 row_ror:4 row_mask:0xf bank_mask:0xf
	v_cmp_eq_f32_e32 vcc, v13, v15
	v_cmp_lt_i32_e64 s[6:7], v11, v14
	s_and_b64 vcc, vcc, s[6:7]
	v_cmp_lt_f32_e64 s[6:7], v13, v15
	v_cndmask_b32_e32 v16, v15, v13, vcc
	s_or_b64 vcc, s[6:7], vcc
	v_cndmask_b32_e64 v13, v16, v13, s[6:7]
	v_cndmask_b32_e32 v11, v14, v11, vcc
	s_nop 0
	v_mov_b32_dpp v15, v13 row_ror:8 row_mask:0xf bank_mask:0xf
	v_mov_b32_dpp v14, v11 row_ror:8 row_mask:0xf bank_mask:0xf
	v_cmp_eq_f32_e32 vcc, v13, v15
	v_cmp_lt_i32_e64 s[6:7], v11, v14
	s_and_b64 vcc, vcc, s[6:7]
	v_cmp_lt_f32_e64 s[6:7], v13, v15
	v_cndmask_b32_e32 v16, v15, v13, vcc
	s_or_b64 vcc, s[6:7], vcc
	v_cndmask_b32_e64 v13, v16, v13, s[6:7]
	v_cndmask_b32_e32 v11, v14, v11, vcc
	s_nop 0
	v_mov_b32_dpp v15, v13 row_bcast:15 row_mask:0xf bank_mask:0xf
	v_mov_b32_dpp v14, v11 row_bcast:15 row_mask:0xf bank_mask:0xf
	v_cmp_eq_f32_e32 vcc, v13, v15
	v_cmp_lt_i32_e64 s[6:7], v11, v14
	s_and_b64 vcc, vcc, s[6:7]
	v_cmp_lt_f32_e64 s[6:7], v13, v15
	v_cndmask_b32_e32 v16, v15, v13, vcc
	s_or_b64 vcc, s[6:7], vcc
	v_cndmask_b32_e64 v13, v16, v13, s[6:7]
	v_cndmask_b32_e32 v11, v14, v11, vcc
	s_nop 0
	v_mov_b32_dpp v15, v13 row_bcast:31 row_mask:0xf bank_mask:0xf
	v_mov_b32_dpp v14, v11 row_bcast:31 row_mask:0xf bank_mask:0xf
	v_min_i32_e32 v16, v11, v14
	v_cmp_eq_f32_e32 vcc, v13, v15
	v_cndmask_b32_e32 v14, v14, v16, vcc
	v_cmp_lt_f32_e32 vcc, v13, v15
	v_cndmask_b32_e32 v11, v14, v11, vcc
	ds_bpermute_b32 v11, v5, v11
.LBB21_94:                              ;   in Loop: Header=BB21_89 Depth=1
	s_cbranch_execz .LBB21_98
	s_branch .LBB21_100
.LBB21_95:                              ;   in Loop: Header=BB21_89 Depth=1
                                        ; implicit-def: $vgpr11
	s_branch .LBB21_106
.LBB21_96:                              ;   in Loop: Header=BB21_89 Depth=1
                                        ; implicit-def: $vgpr11
	s_branch .LBB21_101
.LBB21_97:                              ;   in Loop: Header=BB21_89 Depth=1
                                        ; implicit-def: $vgpr11
.LBB21_98:                              ;   in Loop: Header=BB21_89 Depth=1
	s_cmp_eq_u32 s24, 32
	s_waitcnt lgkmcnt(0)
	v_mov_b32_e32 v11, v0
	s_cbranch_scc0 .LBB21_100
; %bb.99:                               ;   in Loop: Header=BB21_89 Depth=1
	s_nop 0
	v_mov_b32_dpp v11, v0 quad_perm:[1,0,3,2] row_mask:0xf bank_mask:0xf
	v_mov_b32_dpp v13, v4 quad_perm:[1,0,3,2] row_mask:0xf bank_mask:0xf
	v_cmp_eq_f32_e64 s[6:7], v4, v13
	v_cmp_lt_i32_e64 s[8:9], v0, v11
	v_cmp_lt_f32_e32 vcc, v4, v13
	s_and_b64 s[6:7], s[6:7], s[8:9]
	s_or_b64 vcc, vcc, s[6:7]
	v_cndmask_b32_e32 v13, v13, v4, vcc
	v_cndmask_b32_e32 v11, v11, v0, vcc
	s_nop 0
	v_mov_b32_dpp v15, v13 quad_perm:[2,3,0,1] row_mask:0xf bank_mask:0xf
	v_mov_b32_dpp v14, v11 quad_perm:[2,3,0,1] row_mask:0xf bank_mask:0xf
	v_cmp_eq_f32_e32 vcc, v13, v15
	v_cmp_lt_i32_e64 s[6:7], v11, v14
	s_and_b64 vcc, vcc, s[6:7]
	v_cmp_lt_f32_e64 s[6:7], v13, v15
	v_cndmask_b32_e32 v16, v15, v13, vcc
	s_or_b64 vcc, s[6:7], vcc
	v_cndmask_b32_e64 v13, v16, v13, s[6:7]
	v_cndmask_b32_e32 v11, v14, v11, vcc
	s_nop 0
	v_mov_b32_dpp v15, v13 row_half_mirror row_mask:0xf bank_mask:0xf
	v_mov_b32_dpp v14, v11 row_half_mirror row_mask:0xf bank_mask:0xf
	v_cmp_eq_f32_e32 vcc, v13, v15
	v_cmp_lt_i32_e64 s[6:7], v11, v14
	s_and_b64 vcc, vcc, s[6:7]
	v_cmp_lt_f32_e64 s[6:7], v13, v15
	v_cndmask_b32_e32 v16, v15, v13, vcc
	s_or_b64 vcc, s[6:7], vcc
	v_cndmask_b32_e64 v13, v16, v13, s[6:7]
	v_cndmask_b32_e32 v11, v14, v11, vcc
	s_nop 0
	v_mov_b32_dpp v15, v13 row_mirror row_mask:0xf bank_mask:0xf
	v_mov_b32_dpp v14, v11 row_mirror row_mask:0xf bank_mask:0xf
	v_cmp_eq_f32_e32 vcc, v13, v15
	v_cmp_lt_i32_e64 s[6:7], v11, v14
	s_and_b64 vcc, vcc, s[6:7]
	v_cmp_lt_f32_e64 s[6:7], v13, v15
	v_cndmask_b32_e32 v16, v15, v13, vcc
	s_or_b64 vcc, s[6:7], vcc
	v_cndmask_b32_e64 v13, v16, v13, s[6:7]
	v_cndmask_b32_e32 v11, v14, v11, vcc
	s_nop 0
	v_mov_b32_dpp v15, v13 row_bcast:15 row_mask:0xa bank_mask:0xf
	v_mov_b32_dpp v14, v11 row_bcast:15 row_mask:0xa bank_mask:0xf
	v_min_i32_e32 v16, v11, v14
	v_cmp_eq_f32_e32 vcc, v13, v15
	v_cndmask_b32_e32 v14, v14, v16, vcc
	v_cmp_lt_f32_e32 vcc, v13, v15
	v_cndmask_b32_e32 v11, v14, v11, vcc
	ds_bpermute_b32 v11, v8, v11
.LBB21_100:                             ;   in Loop: Header=BB21_89 Depth=1
	s_cbranch_execnz .LBB21_105
.LBB21_101:                             ;   in Loop: Header=BB21_89 Depth=1
	s_cmp_eq_u32 s24, 16
	s_waitcnt lgkmcnt(0)
	v_mov_b32_e32 v11, v0
	s_cbranch_scc0 .LBB21_105
; %bb.102:                              ;   in Loop: Header=BB21_89 Depth=1
	s_nop 0
	v_mov_b32_dpp v11, v0 quad_perm:[1,0,3,2] row_mask:0xf bank_mask:0xf
	v_mov_b32_dpp v13, v4 quad_perm:[1,0,3,2] row_mask:0xf bank_mask:0xf
	v_cmp_eq_f32_e64 s[6:7], v4, v13
	v_cmp_lt_i32_e64 s[8:9], v0, v11
	v_cmp_lt_f32_e32 vcc, v4, v13
	s_and_b64 s[6:7], s[6:7], s[8:9]
	s_or_b64 vcc, vcc, s[6:7]
	v_cndmask_b32_e32 v13, v13, v4, vcc
	v_cndmask_b32_e32 v11, v11, v0, vcc
	s_nop 0
	v_mov_b32_dpp v15, v13 quad_perm:[2,3,0,1] row_mask:0xf bank_mask:0xf
	v_mov_b32_dpp v14, v11 quad_perm:[2,3,0,1] row_mask:0xf bank_mask:0xf
	v_cmp_eq_f32_e32 vcc, v13, v15
	v_cmp_lt_i32_e64 s[6:7], v11, v14
	s_and_b64 vcc, vcc, s[6:7]
	v_cmp_lt_f32_e64 s[6:7], v13, v15
	v_cndmask_b32_e32 v16, v15, v13, vcc
	s_or_b64 vcc, s[6:7], vcc
	v_cndmask_b32_e64 v13, v16, v13, s[6:7]
	v_cndmask_b32_e32 v11, v14, v11, vcc
	s_nop 0
	v_mov_b32_dpp v15, v13 row_half_mirror row_mask:0xf bank_mask:0xf
	v_mov_b32_dpp v14, v11 row_half_mirror row_mask:0xf bank_mask:0xf
	v_cmp_eq_f32_e32 vcc, v13, v15
	v_cmp_lt_i32_e64 s[6:7], v11, v14
	s_and_b64 vcc, vcc, s[6:7]
	v_cndmask_b32_e32 v16, v15, v13, vcc
	v_cmp_lt_f32_e64 s[6:7], v13, v15
	v_cndmask_b32_e64 v13, v16, v13, s[6:7]
	s_or_b64 vcc, s[6:7], vcc
	v_cndmask_b32_e32 v11, v14, v11, vcc
	v_mov_b32_dpp v15, v13 row_mirror row_mask:0xf bank_mask:0xf
	v_cmp_nlt_f32_e32 vcc, v13, v15
	v_mov_b32_dpp v14, v11 row_mirror row_mask:0xf bank_mask:0xf
	s_and_saveexec_b64 s[6:7], vcc
; %bb.103:                              ;   in Loop: Header=BB21_89 Depth=1
	v_min_i32_e32 v11, v11, v14
	v_cmp_eq_f32_e32 vcc, v13, v15
	v_cndmask_b32_e32 v11, v14, v11, vcc
; %bb.104:                              ;   in Loop: Header=BB21_89 Depth=1
	s_or_b64 exec, exec, s[6:7]
.LBB21_105:                             ;   in Loop: Header=BB21_89 Depth=1
	s_cbranch_execnz .LBB21_88
.LBB21_106:                             ;   in Loop: Header=BB21_89 Depth=1
	s_cmp_lt_i32 s24, 4
	s_cbranch_scc1 .LBB21_113
; %bb.107:                              ;   in Loop: Header=BB21_89 Depth=1
	s_cmp_lt_i32 s24, 8
	s_cbranch_scc1 .LBB21_114
; %bb.108:                              ;   in Loop: Header=BB21_89 Depth=1
	s_cmp_eq_u32 s24, 8
	s_waitcnt lgkmcnt(0)
	v_mov_b32_e32 v11, v0
	s_cbranch_scc0 .LBB21_112
; %bb.109:                              ;   in Loop: Header=BB21_89 Depth=1
	s_nop 0
	v_mov_b32_dpp v11, v0 quad_perm:[1,0,3,2] row_mask:0xf bank_mask:0xf
	v_mov_b32_dpp v13, v4 quad_perm:[1,0,3,2] row_mask:0xf bank_mask:0xf
	v_cmp_eq_f32_e64 s[6:7], v4, v13
	v_cmp_lt_i32_e64 s[8:9], v0, v11
	v_cmp_lt_f32_e32 vcc, v4, v13
	s_and_b64 s[6:7], s[6:7], s[8:9]
	s_or_b64 vcc, vcc, s[6:7]
	v_cndmask_b32_e32 v13, v13, v4, vcc
	v_cndmask_b32_e32 v11, v11, v0, vcc
	s_nop 0
	v_mov_b32_dpp v15, v13 quad_perm:[2,3,0,1] row_mask:0xf bank_mask:0xf
	v_mov_b32_dpp v14, v11 quad_perm:[2,3,0,1] row_mask:0xf bank_mask:0xf
	v_cmp_eq_f32_e32 vcc, v13, v15
	v_cmp_lt_i32_e64 s[6:7], v11, v14
	s_and_b64 vcc, vcc, s[6:7]
	v_cndmask_b32_e32 v16, v15, v13, vcc
	v_cmp_lt_f32_e64 s[6:7], v13, v15
	v_cndmask_b32_e64 v13, v16, v13, s[6:7]
	s_or_b64 vcc, s[6:7], vcc
	v_cndmask_b32_e32 v11, v14, v11, vcc
	v_mov_b32_dpp v15, v13 row_half_mirror row_mask:0xf bank_mask:0xf
	v_cmp_nlt_f32_e32 vcc, v13, v15
	v_mov_b32_dpp v14, v11 row_half_mirror row_mask:0xf bank_mask:0xf
	s_and_saveexec_b64 s[6:7], vcc
; %bb.110:                              ;   in Loop: Header=BB21_89 Depth=1
	v_min_i32_e32 v11, v11, v14
	v_cmp_eq_f32_e32 vcc, v13, v15
	v_cndmask_b32_e32 v11, v14, v11, vcc
; %bb.111:                              ;   in Loop: Header=BB21_89 Depth=1
	s_or_b64 exec, exec, s[6:7]
.LBB21_112:                             ;   in Loop: Header=BB21_89 Depth=1
	s_cbranch_execz .LBB21_115
	s_branch .LBB21_119
.LBB21_113:                             ;   in Loop: Header=BB21_89 Depth=1
                                        ; implicit-def: $vgpr11
	s_branch .LBB21_120
.LBB21_114:                             ;   in Loop: Header=BB21_89 Depth=1
                                        ; implicit-def: $vgpr11
.LBB21_115:                             ;   in Loop: Header=BB21_89 Depth=1
	s_cmp_eq_u32 s24, 4
	s_waitcnt lgkmcnt(0)
	v_mov_b32_e32 v11, v0
	s_cbranch_scc0 .LBB21_119
; %bb.116:                              ;   in Loop: Header=BB21_89 Depth=1
	s_nop 0
	v_mov_b32_dpp v11, v0 quad_perm:[1,0,3,2] row_mask:0xf bank_mask:0xf
	v_mov_b32_dpp v13, v4 quad_perm:[1,0,3,2] row_mask:0xf bank_mask:0xf
	v_cmp_eq_f32_e64 s[6:7], v4, v13
	v_cmp_lt_i32_e64 s[8:9], v0, v11
	v_cmp_lt_f32_e32 vcc, v4, v13
	s_and_b64 s[6:7], s[6:7], s[8:9]
	s_or_b64 vcc, vcc, s[6:7]
	v_cndmask_b32_e32 v13, v13, v4, vcc
	v_cndmask_b32_e32 v11, v11, v0, vcc
	s_nop 0
	v_mov_b32_dpp v15, v13 quad_perm:[2,3,0,1] row_mask:0xf bank_mask:0xf
	v_mov_b32_dpp v14, v11 quad_perm:[2,3,0,1] row_mask:0xf bank_mask:0xf
	v_cmp_nlt_f32_e32 vcc, v13, v15
	s_and_saveexec_b64 s[6:7], vcc
; %bb.117:                              ;   in Loop: Header=BB21_89 Depth=1
	v_min_i32_e32 v11, v11, v14
	v_cmp_eq_f32_e32 vcc, v13, v15
	v_cndmask_b32_e32 v11, v14, v11, vcc
; %bb.118:                              ;   in Loop: Header=BB21_89 Depth=1
	s_or_b64 exec, exec, s[6:7]
.LBB21_119:                             ;   in Loop: Header=BB21_89 Depth=1
	s_cbranch_execnz .LBB21_88
.LBB21_120:                             ;   in Loop: Header=BB21_89 Depth=1
	s_cmp_lg_u32 s24, 2
	s_waitcnt lgkmcnt(0)
	v_mov_b32_e32 v11, v0
	s_cbranch_scc1 .LBB21_88
; %bb.121:                              ;   in Loop: Header=BB21_89 Depth=1
	v_mov_b32_dpp v14, v4 quad_perm:[1,0,3,2] row_mask:0xf bank_mask:0xf
	v_mov_b32_dpp v13, v0 quad_perm:[1,0,3,2] row_mask:0xf bank_mask:0xf
	v_cmp_nlt_f32_e32 vcc, v4, v14
	v_mov_b32_e32 v11, v0
	s_and_saveexec_b64 s[6:7], vcc
	s_cbranch_execz .LBB21_87
; %bb.122:                              ;   in Loop: Header=BB21_89 Depth=1
	v_min_i32_e32 v11, v0, v13
	v_cmp_eq_f32_e32 vcc, v4, v14
	v_cndmask_b32_e32 v11, v13, v11, vcc
	s_branch .LBB21_87
.LBB21_123:
	s_load_dwordx4 s[12:15], s[4:5], 0x40
	s_load_dwordx2 s[26:27], s[4:5], 0x50
	s_load_dword s23, s[4:5], 0x58
	s_mov_b64 s[4:5], src_shared_base
	s_cmp_lg_u32 0, -1
	s_cselect_b32 s4, s5, 0
	s_cselect_b32 s5, 0, 0
	s_add_u32 s5, s5, 0xff
	s_addc_u32 s4, s4, 0
	s_and_b32 s5, s5, 0xffffff00
	v_mov_b32_e32 v4, s5
	v_mov_b32_e32 v5, s4
	s_waitcnt lgkmcnt(0)
	s_lshl_b32 s6, s12, 2
	v_mad_u64_u32 v[8:9], s[4:5], s6, v2, v[4:5]
	v_mov_b32_e32 v5, s12
	s_sub_u32 s28, s12, s14
	v_ashrrev_i32_e32 v10, 31, v2
	v_alignbit_b32 v5, s13, v5, 30
	s_subb_u32 s29, s13, s15
	v_mul_lo_u32 v4, s6, v10
	v_mul_lo_u32 v2, v5, v2
	v_cmp_lt_i64_e64 s[4:5], s[28:29], 1
	v_add3_u32 v9, v2, v9, v4
	s_and_b64 vcc, exec, s[4:5]
	v_cmp_eq_u32_e64 s[4:5], 0, v12
	s_waitcnt vmcnt(0)
	buffer_store_dword v1, off, s[0:3], 0 offset:128
	s_cbranch_vccnz .LBB21_200
; %bb.124:
	s_cmp_lt_i32 s10, 2
	s_cselect_b64 s[30:31], -1, 0
	v_mad_u64_u32 v[4:5], s[6:7], v6, s23, 0
	s_add_i32 s9, s10, -1
	s_ashr_i32 s8, s23, 31
	s_add_i32 s6, s10, -2
	s_and_b32 s25, s9, 7
	s_cmp_gt_u32 s6, 6
	s_cselect_b64 s[6:7], -1, 0
	s_and_b32 s33, s9, -8
	s_cmp_lg_u32 s25, 0
	s_cselect_b64 s[34:35], -1, 0
	s_and_b32 s42, s10, 7
	s_cmp_gt_u32 s9, 6
	s_cselect_b64 s[36:37], -1, 0
	s_and_b32 s43, s10, 0x7ffffff8
	s_cmp_lg_u32 s42, 0
	s_cselect_b64 s[38:39], -1, 0
	s_abs_i32 s44, s10
	v_cvt_f32_u32_e32 v1, s44
	v_mov_b32_e32 v2, v5
	v_mad_u64_u32 v[10:11], s[8:9], v6, s8, v[2:3]
	v_rcp_iflag_f32_e32 v1, v1
	v_mov_b32_e32 v5, v10
	v_lshlrev_b64 v[4:5], 2, v[4:5]
	v_mov_b32_e32 v2, s19
	v_mul_f32_e32 v1, 0x4f7ffffe, v1
	v_cvt_u32_f32_e32 v10, v1
	v_add_co_u32_e32 v1, vcc, s18, v4
	s_sub_i32 s8, 0, s44
	v_addc_co_u32_e32 v4, vcc, v2, v5, vcc
	v_mul_lo_u32 v2, s8, v10
	v_mul_hi_u32 v2, v10, v2
	v_add_u32_e32 v5, v10, v2
	v_cndmask_b32_e64 v2, 0, 1, s[6:7]
	v_mov_b32_e32 v10, 0x80
	v_cmp_ne_u32_e64 s[6:7], 1, v2
	v_mbcnt_hi_u32_b32 v14, -1, v3
	v_bfrev_b32_e32 v2, 0.5
	s_ashr_i32 s45, s10, 31
	v_mov_b32_e32 v18, 0
	v_or_b32_e32 v11, 4, v10
	s_mov_b64 s[40:41], 0
	s_mov_b32 s46, 0x7f7fffff
	v_mov_b32_e32 v13, 0xff7fffff
	v_lshl_or_b32 v15, v14, 2, v2
	v_mov_b32_e32 v16, 0x7c
	s_branch .LBB21_126
.LBB21_125:                             ;   in Loop: Header=BB21_126 Depth=1
	s_or_b64 exec, exec, s[8:9]
	s_add_u32 s40, s40, 1
	s_addc_u32 s41, s41, 0
	v_pk_mov_b32 v[2:3], s[40:41], s[40:41] op_sel:[0,1]
	v_cmp_le_i64_e32 vcc, s[28:29], v[2:3]
	s_cbranch_vccnz .LBB21_201
.LBB21_126:                             ; =>This Loop Header: Depth=1
                                        ;     Child Loop BB21_129 Depth 2
                                        ;     Child Loop BB21_133 Depth 2
	;; [unrolled: 1-line block ×4, first 2 shown]
	buffer_load_dword v17, off, s[0:3], 0 offset:128
	v_mov_b32_e32 v2, v0
	s_waitcnt vmcnt(0)
	v_cmp_eq_f32_e32 vcc, s46, v17
	s_or_b64 s[8:9], s[30:31], vcc
	v_cndmask_b32_e32 v3, v17, v13, vcc
	s_xor_b64 s[10:11], s[8:9], -1
	s_and_saveexec_b64 s[8:9], s[10:11]
	s_cbranch_execz .LBB21_135
; %bb.127:                              ;   in Loop: Header=BB21_126 Depth=1
	s_and_b64 vcc, exec, s[6:7]
	s_mov_b32 s10, 1
	s_cbranch_vccnz .LBB21_131
; %bb.128:                              ;   in Loop: Header=BB21_126 Depth=1
	s_mov_b32 s11, 0
	v_mov_b32_e32 v3, v11
	v_mov_b32_e32 v2, v0
.LBB21_129:                             ;   Parent Loop BB21_126 Depth=1
                                        ; =>  This Inner Loop Header: Depth=2
	buffer_load_dword v19, v3, s[0:3], 0 offen
	buffer_load_dword v20, v3, s[0:3], 0 offen offset:4
	buffer_load_dword v21, v3, s[0:3], 0 offen offset:8
	;; [unrolled: 1-line block ×7, first 2 shown]
	s_mov_b32 s10, s11
	v_add_u32_e32 v27, s10, v0
	v_add_u32_e32 v28, 1, v27
	;; [unrolled: 1-line block ×8, first 2 shown]
	s_add_i32 s11, s11, 8
	v_add_u32_e32 v27, 8, v27
	v_add_u32_e32 v3, 32, v3
	s_cmp_lg_u32 s33, s11
	s_waitcnt vmcnt(7)
	v_cmp_gt_f32_e32 vcc, v19, v17
	v_cndmask_b32_e32 v17, v17, v19, vcc
	v_cndmask_b32_e32 v2, v2, v28, vcc
	s_waitcnt vmcnt(6)
	v_cmp_gt_f32_e32 vcc, v20, v17
	v_cndmask_b32_e32 v17, v17, v20, vcc
	v_cndmask_b32_e32 v2, v2, v29, vcc
	;; [unrolled: 4-line block ×8, first 2 shown]
	s_cbranch_scc1 .LBB21_129
; %bb.130:                              ;   in Loop: Header=BB21_126 Depth=1
	s_add_i32 s10, s10, 9
	s_andn2_b64 vcc, exec, s[34:35]
	s_cbranch_vccz .LBB21_132
	s_branch .LBB21_134
.LBB21_131:                             ;   in Loop: Header=BB21_126 Depth=1
	v_mov_b32_e32 v2, v0
	s_andn2_b64 vcc, exec, s[34:35]
	s_cbranch_vccnz .LBB21_134
.LBB21_132:                             ;   in Loop: Header=BB21_126 Depth=1
	v_add_u32_e32 v3, s10, v0
	s_lshl_b32 s10, s10, 2
	v_add_u32_e32 v19, s10, v10
	s_mov_b32 s10, s25
.LBB21_133:                             ;   Parent Loop BB21_126 Depth=1
                                        ; =>  This Inner Loop Header: Depth=2
	buffer_load_dword v20, v19, s[0:3], 0 offen
	s_add_i32 s10, s10, -1
	v_add_u32_e32 v19, 4, v19
	s_cmp_lg_u32 s10, 0
	s_waitcnt vmcnt(0)
	v_cmp_gt_f32_e32 vcc, v20, v17
	v_cndmask_b32_e32 v17, v17, v20, vcc
	v_cndmask_b32_e32 v2, v2, v3, vcc
	v_add_u32_e32 v3, 1, v3
	s_cbranch_scc1 .LBB21_133
.LBB21_134:                             ;   in Loop: Header=BB21_126 Depth=1
	v_mov_b32_e32 v3, v17
.LBB21_135:                             ;   in Loop: Header=BB21_126 Depth=1
	s_or_b64 exec, exec, s[8:9]
	s_cmp_lt_i32 s24, 16
	s_cbranch_scc1 .LBB21_141
; %bb.136:                              ;   in Loop: Header=BB21_126 Depth=1
	s_cmp_lt_i32 s24, 32
	s_cbranch_scc1 .LBB21_142
; %bb.137:                              ;   in Loop: Header=BB21_126 Depth=1
	;; [unrolled: 3-line block ×3, first 2 shown]
	s_cmp_eq_u32 s24, 64
	v_mov_b32_e32 v17, v2
	s_cbranch_scc0 .LBB21_140
; %bb.139:                              ;   in Loop: Header=BB21_126 Depth=1
	s_nop 0
	v_mov_b32_dpp v17, v2 quad_perm:[1,0,3,2] row_mask:0xf bank_mask:0xf
	v_mov_b32_dpp v19, v3 quad_perm:[1,0,3,2] row_mask:0xf bank_mask:0xf
	v_cmp_eq_f32_e64 s[8:9], v3, v19
	v_cmp_lt_i32_e64 s[10:11], v2, v17
	v_cmp_gt_f32_e32 vcc, v3, v19
	s_and_b64 s[8:9], s[8:9], s[10:11]
	s_or_b64 vcc, vcc, s[8:9]
	v_cndmask_b32_e32 v19, v19, v3, vcc
	v_cndmask_b32_e32 v17, v17, v2, vcc
	s_nop 0
	v_mov_b32_dpp v21, v19 quad_perm:[2,3,0,1] row_mask:0xf bank_mask:0xf
	v_mov_b32_dpp v20, v17 quad_perm:[2,3,0,1] row_mask:0xf bank_mask:0xf
	v_cmp_eq_f32_e32 vcc, v19, v21
	v_cmp_lt_i32_e64 s[8:9], v17, v20
	s_and_b64 vcc, vcc, s[8:9]
	v_cmp_gt_f32_e64 s[8:9], v19, v21
	v_cndmask_b32_e32 v22, v21, v19, vcc
	s_or_b64 vcc, s[8:9], vcc
	v_cndmask_b32_e64 v19, v22, v19, s[8:9]
	v_cndmask_b32_e32 v17, v20, v17, vcc
	s_nop 0
	v_mov_b32_dpp v21, v19 row_ror:4 row_mask:0xf bank_mask:0xf
	v_mov_b32_dpp v20, v17 row_ror:4 row_mask:0xf bank_mask:0xf
	v_cmp_eq_f32_e32 vcc, v19, v21
	v_cmp_lt_i32_e64 s[8:9], v17, v20
	s_and_b64 vcc, vcc, s[8:9]
	v_cmp_gt_f32_e64 s[8:9], v19, v21
	v_cndmask_b32_e32 v22, v21, v19, vcc
	s_or_b64 vcc, s[8:9], vcc
	v_cndmask_b32_e64 v19, v22, v19, s[8:9]
	v_cndmask_b32_e32 v17, v20, v17, vcc
	s_nop 0
	v_mov_b32_dpp v21, v19 row_ror:8 row_mask:0xf bank_mask:0xf
	v_mov_b32_dpp v20, v17 row_ror:8 row_mask:0xf bank_mask:0xf
	v_cmp_eq_f32_e32 vcc, v19, v21
	v_cmp_lt_i32_e64 s[8:9], v17, v20
	s_and_b64 vcc, vcc, s[8:9]
	v_cmp_gt_f32_e64 s[8:9], v19, v21
	v_cndmask_b32_e32 v22, v21, v19, vcc
	s_or_b64 vcc, s[8:9], vcc
	v_cndmask_b32_e64 v19, v22, v19, s[8:9]
	v_cndmask_b32_e32 v17, v20, v17, vcc
	s_nop 0
	v_mov_b32_dpp v21, v19 row_bcast:15 row_mask:0xf bank_mask:0xf
	v_mov_b32_dpp v20, v17 row_bcast:15 row_mask:0xf bank_mask:0xf
	v_cmp_eq_f32_e32 vcc, v19, v21
	v_cmp_lt_i32_e64 s[8:9], v17, v20
	s_and_b64 vcc, vcc, s[8:9]
	v_cmp_gt_f32_e64 s[8:9], v19, v21
	v_cndmask_b32_e32 v22, v21, v19, vcc
	s_or_b64 vcc, s[8:9], vcc
	v_cndmask_b32_e64 v19, v22, v19, s[8:9]
	v_cndmask_b32_e32 v17, v20, v17, vcc
	s_nop 0
	v_mov_b32_dpp v21, v19 row_bcast:31 row_mask:0xf bank_mask:0xf
	v_mov_b32_dpp v20, v17 row_bcast:31 row_mask:0xf bank_mask:0xf
	v_min_i32_e32 v22, v17, v20
	v_cmp_eq_f32_e32 vcc, v19, v21
	v_cndmask_b32_e32 v20, v20, v22, vcc
	v_cmp_gt_f32_e32 vcc, v19, v21
	v_cndmask_b32_e32 v17, v20, v17, vcc
	ds_bpermute_b32 v17, v15, v17
.LBB21_140:                             ;   in Loop: Header=BB21_126 Depth=1
	s_cbranch_execz .LBB21_144
	s_branch .LBB21_146
.LBB21_141:                             ;   in Loop: Header=BB21_126 Depth=1
                                        ; implicit-def: $vgpr17
	s_branch .LBB21_152
.LBB21_142:                             ;   in Loop: Header=BB21_126 Depth=1
                                        ; implicit-def: $vgpr17
	s_branch .LBB21_147
.LBB21_143:                             ;   in Loop: Header=BB21_126 Depth=1
                                        ; implicit-def: $vgpr17
.LBB21_144:                             ;   in Loop: Header=BB21_126 Depth=1
	s_cmp_eq_u32 s24, 32
	s_waitcnt lgkmcnt(0)
	v_mov_b32_e32 v17, v2
	s_cbranch_scc0 .LBB21_146
; %bb.145:                              ;   in Loop: Header=BB21_126 Depth=1
	s_nop 0
	v_mov_b32_dpp v17, v2 quad_perm:[1,0,3,2] row_mask:0xf bank_mask:0xf
	v_mov_b32_dpp v19, v3 quad_perm:[1,0,3,2] row_mask:0xf bank_mask:0xf
	v_cmp_eq_f32_e64 s[8:9], v3, v19
	v_cmp_lt_i32_e64 s[10:11], v2, v17
	v_cmp_gt_f32_e32 vcc, v3, v19
	s_and_b64 s[8:9], s[8:9], s[10:11]
	s_or_b64 vcc, vcc, s[8:9]
	v_cndmask_b32_e32 v19, v19, v3, vcc
	v_cndmask_b32_e32 v17, v17, v2, vcc
	s_nop 0
	v_mov_b32_dpp v21, v19 quad_perm:[2,3,0,1] row_mask:0xf bank_mask:0xf
	v_mov_b32_dpp v20, v17 quad_perm:[2,3,0,1] row_mask:0xf bank_mask:0xf
	v_cmp_eq_f32_e32 vcc, v19, v21
	v_cmp_lt_i32_e64 s[8:9], v17, v20
	s_and_b64 vcc, vcc, s[8:9]
	v_cmp_gt_f32_e64 s[8:9], v19, v21
	v_cndmask_b32_e32 v22, v21, v19, vcc
	s_or_b64 vcc, s[8:9], vcc
	v_cndmask_b32_e64 v19, v22, v19, s[8:9]
	v_cndmask_b32_e32 v17, v20, v17, vcc
	s_nop 0
	v_mov_b32_dpp v21, v19 row_half_mirror row_mask:0xf bank_mask:0xf
	v_mov_b32_dpp v20, v17 row_half_mirror row_mask:0xf bank_mask:0xf
	v_cmp_eq_f32_e32 vcc, v19, v21
	v_cmp_lt_i32_e64 s[8:9], v17, v20
	s_and_b64 vcc, vcc, s[8:9]
	v_cmp_gt_f32_e64 s[8:9], v19, v21
	v_cndmask_b32_e32 v22, v21, v19, vcc
	s_or_b64 vcc, s[8:9], vcc
	v_cndmask_b32_e64 v19, v22, v19, s[8:9]
	v_cndmask_b32_e32 v17, v20, v17, vcc
	s_nop 0
	v_mov_b32_dpp v21, v19 row_mirror row_mask:0xf bank_mask:0xf
	v_mov_b32_dpp v20, v17 row_mirror row_mask:0xf bank_mask:0xf
	v_cmp_eq_f32_e32 vcc, v19, v21
	v_cmp_lt_i32_e64 s[8:9], v17, v20
	s_and_b64 vcc, vcc, s[8:9]
	v_cmp_gt_f32_e64 s[8:9], v19, v21
	v_cndmask_b32_e32 v22, v21, v19, vcc
	s_or_b64 vcc, s[8:9], vcc
	v_cndmask_b32_e64 v19, v22, v19, s[8:9]
	v_cndmask_b32_e32 v17, v20, v17, vcc
	s_nop 0
	v_mov_b32_dpp v21, v19 row_bcast:15 row_mask:0xa bank_mask:0xf
	v_mov_b32_dpp v20, v17 row_bcast:15 row_mask:0xa bank_mask:0xf
	v_min_i32_e32 v22, v17, v20
	v_cmp_eq_f32_e32 vcc, v19, v21
	v_cndmask_b32_e32 v20, v20, v22, vcc
	v_cmp_gt_f32_e32 vcc, v19, v21
	v_cndmask_b32_e32 v17, v20, v17, vcc
	v_lshl_or_b32 v19, v14, 2, v16
	ds_bpermute_b32 v17, v19, v17
.LBB21_146:                             ;   in Loop: Header=BB21_126 Depth=1
	s_cbranch_execnz .LBB21_151
.LBB21_147:                             ;   in Loop: Header=BB21_126 Depth=1
	s_cmp_eq_u32 s24, 16
	s_waitcnt lgkmcnt(0)
	v_mov_b32_e32 v17, v2
	s_cbranch_scc0 .LBB21_151
; %bb.148:                              ;   in Loop: Header=BB21_126 Depth=1
	s_nop 0
	v_mov_b32_dpp v17, v2 quad_perm:[1,0,3,2] row_mask:0xf bank_mask:0xf
	v_mov_b32_dpp v19, v3 quad_perm:[1,0,3,2] row_mask:0xf bank_mask:0xf
	v_cmp_eq_f32_e64 s[8:9], v3, v19
	v_cmp_lt_i32_e64 s[10:11], v2, v17
	v_cmp_gt_f32_e32 vcc, v3, v19
	s_and_b64 s[8:9], s[8:9], s[10:11]
	s_or_b64 vcc, vcc, s[8:9]
	v_cndmask_b32_e32 v19, v19, v3, vcc
	v_cndmask_b32_e32 v17, v17, v2, vcc
	s_nop 0
	v_mov_b32_dpp v21, v19 quad_perm:[2,3,0,1] row_mask:0xf bank_mask:0xf
	v_mov_b32_dpp v20, v17 quad_perm:[2,3,0,1] row_mask:0xf bank_mask:0xf
	v_cmp_eq_f32_e32 vcc, v19, v21
	v_cmp_lt_i32_e64 s[8:9], v17, v20
	s_and_b64 vcc, vcc, s[8:9]
	v_cmp_gt_f32_e64 s[8:9], v19, v21
	v_cndmask_b32_e32 v22, v21, v19, vcc
	s_or_b64 vcc, s[8:9], vcc
	v_cndmask_b32_e64 v19, v22, v19, s[8:9]
	v_cndmask_b32_e32 v17, v20, v17, vcc
	s_nop 0
	v_mov_b32_dpp v21, v19 row_half_mirror row_mask:0xf bank_mask:0xf
	v_mov_b32_dpp v20, v17 row_half_mirror row_mask:0xf bank_mask:0xf
	v_cmp_eq_f32_e32 vcc, v19, v21
	v_cmp_lt_i32_e64 s[8:9], v17, v20
	s_and_b64 vcc, vcc, s[8:9]
	v_cndmask_b32_e32 v22, v21, v19, vcc
	v_cmp_gt_f32_e64 s[8:9], v19, v21
	v_cndmask_b32_e64 v19, v22, v19, s[8:9]
	s_or_b64 vcc, s[8:9], vcc
	v_cndmask_b32_e32 v17, v20, v17, vcc
	v_mov_b32_dpp v21, v19 row_mirror row_mask:0xf bank_mask:0xf
	v_cmp_ngt_f32_e32 vcc, v19, v21
	v_mov_b32_dpp v20, v17 row_mirror row_mask:0xf bank_mask:0xf
	s_and_saveexec_b64 s[8:9], vcc
; %bb.149:                              ;   in Loop: Header=BB21_126 Depth=1
	v_min_i32_e32 v17, v17, v20
	v_cmp_eq_f32_e32 vcc, v19, v21
	v_cndmask_b32_e32 v17, v20, v17, vcc
; %bb.150:                              ;   in Loop: Header=BB21_126 Depth=1
	s_or_b64 exec, exec, s[8:9]
.LBB21_151:                             ;   in Loop: Header=BB21_126 Depth=1
	s_cbranch_execnz .LBB21_171
.LBB21_152:                             ;   in Loop: Header=BB21_126 Depth=1
	s_cmp_lt_i32 s24, 4
	s_cbranch_scc1 .LBB21_159
; %bb.153:                              ;   in Loop: Header=BB21_126 Depth=1
	s_cmp_lt_i32 s24, 8
	s_cbranch_scc1 .LBB21_160
; %bb.154:                              ;   in Loop: Header=BB21_126 Depth=1
	s_cmp_eq_u32 s24, 8
	s_waitcnt lgkmcnt(0)
	v_mov_b32_e32 v17, v2
	s_cbranch_scc0 .LBB21_158
; %bb.155:                              ;   in Loop: Header=BB21_126 Depth=1
	s_nop 0
	v_mov_b32_dpp v17, v2 quad_perm:[1,0,3,2] row_mask:0xf bank_mask:0xf
	v_mov_b32_dpp v19, v3 quad_perm:[1,0,3,2] row_mask:0xf bank_mask:0xf
	v_cmp_eq_f32_e64 s[8:9], v3, v19
	v_cmp_lt_i32_e64 s[10:11], v2, v17
	v_cmp_gt_f32_e32 vcc, v3, v19
	s_and_b64 s[8:9], s[8:9], s[10:11]
	s_or_b64 vcc, vcc, s[8:9]
	v_cndmask_b32_e32 v19, v19, v3, vcc
	v_cndmask_b32_e32 v17, v17, v2, vcc
	s_nop 0
	v_mov_b32_dpp v21, v19 quad_perm:[2,3,0,1] row_mask:0xf bank_mask:0xf
	v_mov_b32_dpp v20, v17 quad_perm:[2,3,0,1] row_mask:0xf bank_mask:0xf
	v_cmp_eq_f32_e32 vcc, v19, v21
	v_cmp_lt_i32_e64 s[8:9], v17, v20
	s_and_b64 vcc, vcc, s[8:9]
	v_cndmask_b32_e32 v22, v21, v19, vcc
	v_cmp_gt_f32_e64 s[8:9], v19, v21
	v_cndmask_b32_e64 v19, v22, v19, s[8:9]
	s_or_b64 vcc, s[8:9], vcc
	v_cndmask_b32_e32 v17, v20, v17, vcc
	v_mov_b32_dpp v21, v19 row_half_mirror row_mask:0xf bank_mask:0xf
	v_cmp_ngt_f32_e32 vcc, v19, v21
	v_mov_b32_dpp v20, v17 row_half_mirror row_mask:0xf bank_mask:0xf
	s_and_saveexec_b64 s[8:9], vcc
; %bb.156:                              ;   in Loop: Header=BB21_126 Depth=1
	v_min_i32_e32 v17, v17, v20
	v_cmp_eq_f32_e32 vcc, v19, v21
	v_cndmask_b32_e32 v17, v20, v17, vcc
; %bb.157:                              ;   in Loop: Header=BB21_126 Depth=1
	s_or_b64 exec, exec, s[8:9]
.LBB21_158:                             ;   in Loop: Header=BB21_126 Depth=1
	s_cbranch_execz .LBB21_161
	s_branch .LBB21_165
.LBB21_159:                             ;   in Loop: Header=BB21_126 Depth=1
                                        ; implicit-def: $vgpr17
	s_branch .LBB21_166
.LBB21_160:                             ;   in Loop: Header=BB21_126 Depth=1
                                        ; implicit-def: $vgpr17
.LBB21_161:                             ;   in Loop: Header=BB21_126 Depth=1
	s_cmp_eq_u32 s24, 4
	s_waitcnt lgkmcnt(0)
	v_mov_b32_e32 v17, v2
	s_cbranch_scc0 .LBB21_165
; %bb.162:                              ;   in Loop: Header=BB21_126 Depth=1
	s_nop 0
	v_mov_b32_dpp v17, v2 quad_perm:[1,0,3,2] row_mask:0xf bank_mask:0xf
	v_mov_b32_dpp v19, v3 quad_perm:[1,0,3,2] row_mask:0xf bank_mask:0xf
	v_cmp_eq_f32_e64 s[8:9], v3, v19
	v_cmp_lt_i32_e64 s[10:11], v2, v17
	v_cmp_gt_f32_e32 vcc, v3, v19
	s_and_b64 s[8:9], s[8:9], s[10:11]
	s_or_b64 vcc, vcc, s[8:9]
	v_cndmask_b32_e32 v19, v19, v3, vcc
	v_cndmask_b32_e32 v17, v17, v2, vcc
	s_nop 0
	v_mov_b32_dpp v21, v19 quad_perm:[2,3,0,1] row_mask:0xf bank_mask:0xf
	v_mov_b32_dpp v20, v17 quad_perm:[2,3,0,1] row_mask:0xf bank_mask:0xf
	v_cmp_ngt_f32_e32 vcc, v19, v21
	s_and_saveexec_b64 s[8:9], vcc
; %bb.163:                              ;   in Loop: Header=BB21_126 Depth=1
	v_min_i32_e32 v17, v17, v20
	v_cmp_eq_f32_e32 vcc, v19, v21
	v_cndmask_b32_e32 v17, v20, v17, vcc
; %bb.164:                              ;   in Loop: Header=BB21_126 Depth=1
	s_or_b64 exec, exec, s[8:9]
.LBB21_165:                             ;   in Loop: Header=BB21_126 Depth=1
	s_cbranch_execnz .LBB21_171
.LBB21_166:                             ;   in Loop: Header=BB21_126 Depth=1
	s_cmp_lg_u32 s24, 2
	s_cbranch_scc1 .LBB21_170
; %bb.167:                              ;   in Loop: Header=BB21_126 Depth=1
	v_mov_b32_dpp v19, v3 quad_perm:[1,0,3,2] row_mask:0xf bank_mask:0xf
	s_waitcnt lgkmcnt(0)
	v_mov_b32_dpp v17, v2 quad_perm:[1,0,3,2] row_mask:0xf bank_mask:0xf
	v_cmp_ngt_f32_e32 vcc, v3, v19
	s_and_saveexec_b64 s[8:9], vcc
; %bb.168:                              ;   in Loop: Header=BB21_126 Depth=1
	v_min_i32_e32 v2, v2, v17
	v_cmp_eq_f32_e32 vcc, v3, v19
	v_cndmask_b32_e32 v2, v17, v2, vcc
; %bb.169:                              ;   in Loop: Header=BB21_126 Depth=1
	s_or_b64 exec, exec, s[8:9]
.LBB21_170:                             ;   in Loop: Header=BB21_126 Depth=1
	s_waitcnt lgkmcnt(0)
	v_mov_b32_e32 v17, v2
.LBB21_171:                             ;   in Loop: Header=BB21_126 Depth=1
	s_waitcnt lgkmcnt(0)
	v_sub_u32_e32 v3, 0, v17
	v_max_i32_e32 v3, v17, v3
	v_mul_hi_u32 v19, v3, v5
	v_mul_lo_u32 v20, v19, s44
	v_sub_u32_e32 v3, v3, v20
	v_add_u32_e32 v20, 1, v19
	v_cmp_le_u32_e32 vcc, s44, v3
	v_cndmask_b32_e32 v19, v19, v20, vcc
	v_subrev_u32_e32 v20, s44, v3
	v_cndmask_b32_e32 v3, v3, v20, vcc
	v_ashrrev_i32_e32 v2, 31, v17
	v_add_u32_e32 v20, 1, v19
	v_cmp_le_u32_e32 vcc, s44, v3
	v_xor_b32_e32 v2, s45, v2
	v_cndmask_b32_e32 v3, v19, v20, vcc
	v_xor_b32_e32 v3, v3, v2
	v_sub_u32_e32 v2, v3, v2
	v_cmp_eq_u32_e32 vcc, v12, v2
	s_and_saveexec_b64 s[8:9], vcc
	s_cbranch_execz .LBB21_198
; %bb.172:                              ;   in Loop: Header=BB21_126 Depth=1
	s_andn2_b64 vcc, exec, s[20:21]
	s_cbranch_vccnz .LBB21_197
; %bb.173:                              ;   in Loop: Header=BB21_126 Depth=1
	s_lshl_b64 s[10:11], s[40:41], 2
	v_sub_u32_e32 v21, v17, v0
	v_mov_b32_e32 v3, s11
	v_add_co_u32_e32 v2, vcc, s10, v8
	v_addc_co_u32_e32 v3, vcc, v9, v3, vcc
	v_lshlrev_b32_e32 v20, 2, v21
	v_add_u32_e32 v19, 0, v20
	v_add_u32_e32 v20, 0x80, v20
	s_andn2_b64 vcc, exec, s[36:37]
	s_mov_b32 s10, 0
	s_cbranch_vccz .LBB21_176
; %bb.174:                              ;   in Loop: Header=BB21_126 Depth=1
	s_andn2_b64 vcc, exec, s[38:39]
	s_cbranch_vccz .LBB21_193
	s_branch .LBB21_197
.LBB21_175:                             ;   in Loop: Header=BB21_176 Depth=2
	s_or_b64 exec, exec, s[10:11]
	s_add_i32 s10, s48, 1
	s_cmp_eq_u32 s10, s43
	s_cbranch_scc1 .LBB21_192
.LBB21_176:                             ;   Parent Loop BB21_126 Depth=1
                                        ; =>  This Inner Loop Header: Depth=2
	s_mov_b32 s47, s10
	v_cmp_eq_u32_e32 vcc, s47, v21
	s_and_saveexec_b64 s[10:11], vcc
	s_cbranch_execz .LBB21_178
; %bb.177:                              ;   in Loop: Header=BB21_176 Depth=2
	buffer_load_dword v22, v19, s[0:3], 0 offen
	s_nop 0
	buffer_store_dword v13, v20, s[0:3], 0 offen
	s_waitcnt vmcnt(0)
	flat_store_dword v[2:3], v22
.LBB21_178:                             ;   in Loop: Header=BB21_176 Depth=2
	s_or_b64 exec, exec, s[10:11]
	s_add_i32 s48, s47, 1
	v_cmp_eq_u32_e32 vcc, s48, v21
	s_and_saveexec_b64 s[10:11], vcc
	s_cbranch_execz .LBB21_180
; %bb.179:                              ;   in Loop: Header=BB21_176 Depth=2
	buffer_load_dword v22, v19, s[0:3], 0 offen
	s_nop 0
	buffer_store_dword v13, v20, s[0:3], 0 offen
	s_waitcnt vmcnt(0)
	flat_store_dword v[2:3], v22
.LBB21_180:                             ;   in Loop: Header=BB21_176 Depth=2
	s_or_b64 exec, exec, s[10:11]
	s_add_i32 s48, s48, 1
	;; [unrolled: 12-line block ×7, first 2 shown]
	v_cmp_eq_u32_e32 vcc, s48, v21
	s_and_saveexec_b64 s[10:11], vcc
	s_cbranch_execz .LBB21_175
; %bb.191:                              ;   in Loop: Header=BB21_176 Depth=2
	buffer_load_dword v22, v19, s[0:3], 0 offen
	s_nop 0
	buffer_store_dword v13, v20, s[0:3], 0 offen
	s_waitcnt vmcnt(0)
	flat_store_dword v[2:3], v22
	s_branch .LBB21_175
.LBB21_192:                             ;   in Loop: Header=BB21_126 Depth=1
	s_add_i32 s10, s47, 8
	s_andn2_b64 vcc, exec, s[38:39]
	s_cbranch_vccnz .LBB21_197
.LBB21_193:                             ;   in Loop: Header=BB21_126 Depth=1
	v_add_u32_e32 v21, s10, v0
	v_sub_u32_e32 v21, v21, v17
	s_mov_b32 s47, s42
	s_branch .LBB21_195
.LBB21_194:                             ;   in Loop: Header=BB21_195 Depth=2
	s_or_b64 exec, exec, s[10:11]
	s_add_i32 s47, s47, -1
	s_cmp_lg_u32 s47, 0
	v_add_u32_e32 v21, 1, v21
	s_cbranch_scc0 .LBB21_197
.LBB21_195:                             ;   Parent Loop BB21_126 Depth=1
                                        ; =>  This Inner Loop Header: Depth=2
	v_cmp_eq_u32_e32 vcc, 0, v21
	s_and_saveexec_b64 s[10:11], vcc
	s_cbranch_execz .LBB21_194
; %bb.196:                              ;   in Loop: Header=BB21_195 Depth=2
	buffer_load_dword v22, v19, s[0:3], 0 offen
	s_nop 0
	buffer_store_dword v13, v20, s[0:3], 0 offen
	s_waitcnt vmcnt(0)
	flat_store_dword v[2:3], v22
	s_branch .LBB21_194
.LBB21_197:                             ;   in Loop: Header=BB21_126 Depth=1
	s_lshl_b64 s[10:11], s[40:41], 2
	v_mov_b32_e32 v3, s11
	v_add_co_u32_e32 v2, vcc, s10, v1
	v_addc_co_u32_e32 v3, vcc, v4, v3, vcc
	global_store_dword v[2:3], v17, off
.LBB21_198:                             ;   in Loop: Header=BB21_126 Depth=1
	s_or_b64 exec, exec, s[8:9]
	s_waitcnt lgkmcnt(0)
	s_barrier
	s_and_saveexec_b64 s[8:9], s[4:5]
	s_cbranch_execz .LBB21_125
; %bb.199:                              ;   in Loop: Header=BB21_126 Depth=1
	s_lshl_b64 s[10:11], s[40:41], 2
	v_mov_b32_e32 v3, s11
	v_add_co_u32_e32 v2, vcc, s10, v8
	v_addc_co_u32_e32 v3, vcc, v9, v3, vcc
	flat_load_dword v2, v[2:3]
	s_waitcnt vmcnt(0) lgkmcnt(0)
	v_add_f32_e32 v18, v18, v2
	s_branch .LBB21_125
.LBB21_200:
	v_mov_b32_e32 v18, 0
.LBB21_201:
	v_cmp_eq_u32_e64 s[4:5], 0, v12
	v_cmp_gt_i64_e64 s[6:7], s[14:15], 0
	s_and_b64 s[8:9], s[6:7], s[4:5]
	s_and_saveexec_b64 s[6:7], s[8:9]
	s_cbranch_execz .LBB21_214
; %bb.202:
	v_cmp_le_u64_e32 vcc, s[14:15], v[6:7]
	v_pk_mov_b32 v[0:1], v[6:7], v[6:7] op_sel:[0,1]
	s_and_saveexec_b64 s[8:9], vcc
	s_cbranch_execz .LBB21_204
; %bb.203:
	v_cvt_f32_u32_e32 v0, s14
	s_sub_i32 s10, 0, s14
	v_rcp_iflag_f32_e32 v0, v0
	v_mul_f32_e32 v0, 0x4f7ffffe, v0
	v_cvt_u32_f32_e32 v0, v0
	v_mul_lo_u32 v1, s10, v0
	v_mul_hi_u32 v1, v0, v1
	v_add_u32_e32 v0, v0, v1
	v_mul_hi_u32 v0, v6, v0
	v_mul_lo_u32 v0, v0, s14
	v_sub_u32_e32 v0, v6, v0
	v_subrev_u32_e32 v1, s14, v0
	v_cmp_le_u32_e32 vcc, s14, v0
	v_cndmask_b32_e32 v0, v0, v1, vcc
	v_subrev_u32_e32 v1, s14, v0
	v_cmp_le_u32_e32 vcc, s14, v0
	v_cndmask_b32_e32 v0, v0, v1, vcc
	v_mov_b32_e32 v1, 0
.LBB21_204:
	s_or_b64 exec, exec, s[8:9]
	v_cvt_f64_f32_e32 v[10:11], v18
	v_pk_mov_b32 v[2:3], s[28:29], s[28:29] op_sel:[0,1]
	v_div_scale_f64 v[16:17], s[8:9], s[26:27], s[26:27], v[10:11]
	v_mad_u64_u32 v[12:13], s[8:9], v6, s23, v[2:3]
	v_rcp_f64_e32 v[20:21], v[16:17]
	s_ashr_i32 s10, s23, 31
	v_mov_b32_e32 v2, v13
	v_mad_u64_u32 v[2:3], s[8:9], v6, s10, v[2:3]
	v_mov_b32_e32 v13, v2
	v_lshlrev_b64 v[14:15], 2, v[12:13]
	v_fma_f64 v[22:23], -v[16:17], v[20:21], 1.0
	v_mov_b32_e32 v3, s19
	v_add_co_u32_e32 v4, vcc, s18, v14
	v_fmac_f64_e32 v[20:21], v[20:21], v[22:23]
	v_addc_co_u32_e32 v5, vcc, v3, v15, vcc
	v_fma_f64 v[22:23], -v[16:17], v[20:21], 1.0
	v_fmac_f64_e32 v[20:21], v[20:21], v[22:23]
	v_div_scale_f64 v[22:23], vcc, v[10:11], s[26:27], v[10:11]
	v_mul_f64 v[24:25], v[22:23], v[20:21]
	v_fma_f64 v[16:17], -v[16:17], v[24:25], v[22:23]
	v_mov_b32_e32 v3, s17
	s_nop 0
	v_div_fmas_f64 v[16:17], v[16:17], v[20:21], v[24:25]
	v_div_fixup_f64 v[10:11], v[16:17], s[26:27], v[10:11]
	v_add_co_u32_e32 v16, vcc, s16, v14
	v_addc_co_u32_e32 v17, vcc, v3, v15, vcc
	v_cmp_lt_u64_e64 s[8:9], s[14:15], 2
	v_add_u32_e32 v2, s22, v0
	v_cvt_f32_f64_e32 v10, v[10:11]
	s_and_b64 vcc, exec, s[8:9]
	global_store_dword v[4:5], v2, off
	global_store_dword v[16:17], v10, off
	s_cbranch_vccnz .LBB21_214
; %bb.205:
	s_cmp_eq_u64 s[14:15], 2
	s_cbranch_scc1 .LBB21_210
; %bb.206:
	v_add_co_u32_e32 v2, vcc, 1, v0
	v_addc_co_u32_e32 v3, vcc, 0, v1, vcc
	s_add_u32 s8, s14, -1
	v_add_co_u32_e32 v14, vcc, 4, v4
	s_addc_u32 s9, s15, -1
	v_addc_co_u32_e32 v15, vcc, 0, v5, vcc
	s_and_b32 s10, s8, -2
	s_mov_b32 s11, s9
	s_add_i32 s24, s22, 1
	v_add_co_u32_e32 v16, vcc, 4, v16
	v_pk_mov_b32 v[4:5], v[2:3], v[2:3] op_sel:[0,1]
	v_mov_b32_e32 v11, v10
	s_mov_b32 s25, s24
	v_addc_co_u32_e32 v17, vcc, 0, v17, vcc
	s_mov_b64 s[20:21], s[10:11]
	v_pk_mov_b32 v[2:3], v[0:1], v[0:1] op_sel:[0,1]
.LBB21_207:                             ; =>This Inner Loop Header: Depth=1
	v_add_u32_e32 v21, s25, v4
	v_add_co_u32_e32 v4, vcc, 2, v4
	v_addc_co_u32_e32 v5, vcc, 0, v5, vcc
	v_add_u32_e32 v20, s24, v2
	v_add_co_u32_e32 v2, vcc, 2, v2
	v_addc_co_u32_e32 v3, vcc, 0, v3, vcc
	global_store_dwordx2 v[16:17], v[10:11], off
	v_add_co_u32_e32 v16, vcc, 8, v16
	v_addc_co_u32_e32 v17, vcc, 0, v17, vcc
	s_add_u32 s20, s20, -2
	global_store_dwordx2 v[14:15], v[20:21], off
	s_addc_u32 s21, s21, -1
	v_add_co_u32_e32 v14, vcc, 8, v14
	s_cmp_lg_u64 s[20:21], 0
	v_addc_co_u32_e32 v15, vcc, 0, v15, vcc
	s_cbranch_scc1 .LBB21_207
; %bb.208:
	s_cmp_eq_u64 s[8:9], s[10:11]
	s_cbranch_scc1 .LBB21_211
; %bb.209:
	v_mov_b32_e32 v1, s11
	v_add_co_u32_e32 v12, vcc, s10, v12
	s_add_i32 s9, s22, s10
	s_or_b32 s8, s8, 1
	v_addc_co_u32_e32 v13, vcc, v13, v1, vcc
	v_add_u32_e32 v2, s9, v0
	s_cbranch_execnz .LBB21_212
	s_branch .LBB21_214
.LBB21_210:
	s_mov_b32 s8, 1
	s_cbranch_execnz .LBB21_212
	s_branch .LBB21_214
.LBB21_211:
	s_mov_b32 s8, 1
                                        ; implicit-def: $vgpr12_vgpr13
                                        ; implicit-def: $vgpr2
	s_branch .LBB21_214
.LBB21_212:
	v_lshlrev_b64 v[0:1], 2, v[12:13]
	v_add_u32_e32 v7, 1, v2
	v_add_co_u32_e32 v2, vcc, 4, v0
	v_addc_co_u32_e32 v3, vcc, 0, v1, vcc
	v_mov_b32_e32 v1, s17
	v_add_co_u32_e32 v0, vcc, s16, v2
	v_addc_co_u32_e32 v1, vcc, v1, v3, vcc
	v_mov_b32_e32 v4, s19
	v_add_co_u32_e32 v2, vcc, s18, v2
	s_mov_b32 s9, 0
	v_addc_co_u32_e32 v3, vcc, v4, v3, vcc
	v_pk_mov_b32 v[4:5], s[14:15], s[14:15] op_sel:[0,1]
.LBB21_213:                             ; =>This Inner Loop Header: Depth=1
	global_store_dword v[2:3], v7, off
	global_store_dword v[0:1], v10, off
	v_add_co_u32_e32 v0, vcc, 4, v0
	v_addc_co_u32_e32 v1, vcc, 0, v1, vcc
	s_add_u32 s8, s8, 1
	v_add_co_u32_e32 v2, vcc, 4, v2
	v_addc_co_u32_e32 v3, vcc, 0, v3, vcc
	s_addc_u32 s9, s9, 0
	v_cmp_lt_u64_e32 vcc, s[8:9], v[4:5]
	v_add_u32_e32 v7, 1, v7
	s_cbranch_vccnz .LBB21_213
.LBB21_214:
	s_or_b64 exec, exec, s[6:7]
	v_cmp_gt_i64_e64 s[8:9], s[12:13], 0
	s_mov_b64 s[6:7], 0
	s_and_b64 s[4:5], s[8:9], s[4:5]
	s_barrier
	s_and_b64 exec, exec, s[4:5]
	s_cbranch_execz .LBB21_221
; %bb.215:
	v_mad_u64_u32 v[0:1], s[4:5], v6, s23, 0
	s_ashr_i32 s8, s23, 31
	v_mov_b32_e32 v2, v1
	v_mad_u64_u32 v[2:3], s[4:5], v6, s8, v[2:3]
	v_mov_b32_e32 v1, v2
	v_lshlrev_b64 v[0:1], 2, v[0:1]
	v_mov_b32_e32 v2, s17
	v_add_co_u32_e32 v4, vcc, s16, v0
	v_addc_co_u32_e32 v5, vcc, v2, v1, vcc
	v_cmp_lt_u64_e64 s[4:5], s[12:13], 8
	s_and_b64 vcc, exec, s[4:5]
	s_cbranch_vccnz .LBB21_218
; %bb.216:
	s_and_b32 s7, s13, 0x7fffffff
	s_and_b32 s6, s12, -8
	s_mov_b64 s[4:5], 0
	s_mov_b64 s[8:9], s[6:7]
.LBB21_217:                             ; =>This Inner Loop Header: Depth=1
	v_mov_b32_e32 v1, s5
	v_add_co_u32_e32 v2, vcc, s4, v8
	v_addc_co_u32_e32 v3, vcc, v9, v1, vcc
	flat_load_dword v6, v[2:3]
	v_add_co_u32_e32 v0, vcc, s4, v4
	v_addc_co_u32_e32 v1, vcc, v5, v1, vcc
	s_add_u32 s4, s4, 32
	s_addc_u32 s5, s5, 0
	s_add_u32 s8, s8, -8
	s_addc_u32 s9, s9, -1
	s_cmp_lg_u64 s[8:9], 0
	s_waitcnt vmcnt(0) lgkmcnt(0)
	v_div_scale_f32 v7, s[10:11], v18, v18, v6
	v_rcp_f32_e32 v11, v7
	v_div_scale_f32 v10, vcc, v6, v18, v6
	v_fma_f32 v12, -v7, v11, 1.0
	v_fmac_f32_e32 v11, v12, v11
	v_mul_f32_e32 v12, v10, v11
	v_fma_f32 v13, -v7, v12, v10
	v_fmac_f32_e32 v12, v13, v11
	v_fma_f32 v7, -v7, v12, v10
	v_div_fmas_f32 v7, v7, v11, v12
	v_div_fixup_f32 v6, v7, v18, v6
	global_store_dword v[0:1], v6, off
	flat_load_dword v6, v[2:3] offset:4
	s_waitcnt vmcnt(0) lgkmcnt(0)
	v_div_scale_f32 v7, s[10:11], v18, v18, v6
	v_rcp_f32_e32 v11, v7
	v_div_scale_f32 v10, vcc, v6, v18, v6
	v_fma_f32 v12, -v7, v11, 1.0
	v_fmac_f32_e32 v11, v12, v11
	v_mul_f32_e32 v12, v10, v11
	v_fma_f32 v13, -v7, v12, v10
	v_fmac_f32_e32 v12, v13, v11
	v_fma_f32 v7, -v7, v12, v10
	v_div_fmas_f32 v7, v7, v11, v12
	v_div_fixup_f32 v6, v7, v18, v6
	global_store_dword v[0:1], v6, off offset:4
	flat_load_dword v6, v[2:3] offset:8
	s_waitcnt vmcnt(0) lgkmcnt(0)
	v_div_scale_f32 v7, s[10:11], v18, v18, v6
	v_rcp_f32_e32 v11, v7
	v_div_scale_f32 v10, vcc, v6, v18, v6
	v_fma_f32 v12, -v7, v11, 1.0
	v_fmac_f32_e32 v11, v12, v11
	v_mul_f32_e32 v12, v10, v11
	v_fma_f32 v13, -v7, v12, v10
	v_fmac_f32_e32 v12, v13, v11
	v_fma_f32 v7, -v7, v12, v10
	v_div_fmas_f32 v7, v7, v11, v12
	v_div_fixup_f32 v6, v7, v18, v6
	global_store_dword v[0:1], v6, off offset:8
	;; [unrolled: 14-line block ×7, first 2 shown]
	s_cbranch_scc1 .LBB21_217
.LBB21_218:
	s_and_b32 s4, s12, 7
	s_mov_b32 s5, 0
	s_cmp_eq_u64 s[4:5], 0
	s_cbranch_scc1 .LBB21_221
; %bb.219:
	s_mov_b64 s[8:9], s[4:5]
.LBB21_220:                             ; =>This Inner Loop Header: Depth=1
	s_lshl_b64 s[10:11], s[6:7], 2
	v_mov_b32_e32 v2, s11
	v_add_co_u32_e32 v0, vcc, s10, v8
	v_addc_co_u32_e32 v1, vcc, v9, v2, vcc
	flat_load_dword v3, v[0:1]
	v_add_co_u32_e32 v0, vcc, s10, v4
	v_addc_co_u32_e32 v1, vcc, v5, v2, vcc
	s_add_i32 s4, s6, 1
	s_add_u32 s8, s8, -1
	s_addc_u32 s9, s9, -1
	s_mov_b64 s[6:7], s[4:5]
	s_cmp_lg_u64 s[8:9], 0
	s_waitcnt vmcnt(0) lgkmcnt(0)
	v_div_scale_f32 v2, s[10:11], v18, v18, v3
	v_rcp_f32_e32 v6, v2
	v_div_scale_f32 v7, vcc, v3, v18, v3
	v_fma_f32 v10, -v2, v6, 1.0
	v_fmac_f32_e32 v6, v10, v6
	v_mul_f32_e32 v10, v7, v6
	v_fma_f32 v11, -v2, v10, v7
	v_fmac_f32_e32 v10, v11, v6
	v_fma_f32 v2, -v2, v10, v7
	v_div_fmas_f32 v2, v2, v6, v10
	v_div_fixup_f32 v2, v2, v18, v3
	global_store_dword v[0:1], v2, off
	s_cbranch_scc1 .LBB21_220
.LBB21_221:
	s_endpgm
	.section	.rodata,"a",@progbits
	.p2align	6, 0x0
	.amdhsa_kernel _Z29moe_fused_gate_kernel_dynamicIfEvPvS0_PfPilllllldi
		.amdhsa_group_segment_fixed_size 0
		.amdhsa_private_segment_fixed_size 272
		.amdhsa_kernarg_size 92
		.amdhsa_user_sgpr_count 8
		.amdhsa_user_sgpr_private_segment_buffer 1
		.amdhsa_user_sgpr_dispatch_ptr 0
		.amdhsa_user_sgpr_queue_ptr 0
		.amdhsa_user_sgpr_kernarg_segment_ptr 1
		.amdhsa_user_sgpr_dispatch_id 0
		.amdhsa_user_sgpr_flat_scratch_init 1
		.amdhsa_user_sgpr_kernarg_preload_length 0
		.amdhsa_user_sgpr_kernarg_preload_offset 0
		.amdhsa_user_sgpr_private_segment_size 0
		.amdhsa_uses_dynamic_stack 0
		.amdhsa_system_sgpr_private_segment_wavefront_offset 1
		.amdhsa_system_sgpr_workgroup_id_x 1
		.amdhsa_system_sgpr_workgroup_id_y 0
		.amdhsa_system_sgpr_workgroup_id_z 0
		.amdhsa_system_sgpr_workgroup_info 0
		.amdhsa_system_vgpr_workitem_id 1
		.amdhsa_next_free_vgpr 40
		.amdhsa_next_free_sgpr 49
		.amdhsa_accum_offset 40
		.amdhsa_reserve_vcc 1
		.amdhsa_reserve_flat_scratch 1
		.amdhsa_float_round_mode_32 0
		.amdhsa_float_round_mode_16_64 0
		.amdhsa_float_denorm_mode_32 3
		.amdhsa_float_denorm_mode_16_64 3
		.amdhsa_dx10_clamp 1
		.amdhsa_ieee_mode 1
		.amdhsa_fp16_overflow 0
		.amdhsa_tg_split 0
		.amdhsa_exception_fp_ieee_invalid_op 0
		.amdhsa_exception_fp_denorm_src 0
		.amdhsa_exception_fp_ieee_div_zero 0
		.amdhsa_exception_fp_ieee_overflow 0
		.amdhsa_exception_fp_ieee_underflow 0
		.amdhsa_exception_fp_ieee_inexact 0
		.amdhsa_exception_int_div_zero 0
	.end_amdhsa_kernel
	.section	.text._Z29moe_fused_gate_kernel_dynamicIfEvPvS0_PfPilllllldi,"axG",@progbits,_Z29moe_fused_gate_kernel_dynamicIfEvPvS0_PfPilllllldi,comdat
.Lfunc_end21:
	.size	_Z29moe_fused_gate_kernel_dynamicIfEvPvS0_PfPilllllldi, .Lfunc_end21-_Z29moe_fused_gate_kernel_dynamicIfEvPvS0_PfPilllllldi
                                        ; -- End function
	.section	.AMDGPU.csdata,"",@progbits
; Kernel info:
; codeLenInByte = 12384
; NumSgprs: 55
; NumVgprs: 40
; NumAgprs: 0
; TotalNumVgprs: 40
; ScratchSize: 272
; MemoryBound: 0
; FloatMode: 240
; IeeeMode: 1
; LDSByteSize: 0 bytes/workgroup (compile time only)
; SGPRBlocks: 6
; VGPRBlocks: 4
; NumSGPRsForWavesPerEU: 55
; NumVGPRsForWavesPerEU: 40
; AccumOffset: 40
; Occupancy: 8
; WaveLimiterHint : 0
; COMPUTE_PGM_RSRC2:SCRATCH_EN: 1
; COMPUTE_PGM_RSRC2:USER_SGPR: 8
; COMPUTE_PGM_RSRC2:TRAP_HANDLER: 0
; COMPUTE_PGM_RSRC2:TGID_X_EN: 1
; COMPUTE_PGM_RSRC2:TGID_Y_EN: 0
; COMPUTE_PGM_RSRC2:TGID_Z_EN: 0
; COMPUTE_PGM_RSRC2:TIDIG_COMP_CNT: 1
; COMPUTE_PGM_RSRC3_GFX90A:ACCUM_OFFSET: 9
; COMPUTE_PGM_RSRC3_GFX90A:TG_SPLIT: 0
	.text
	.p2alignl 6, 3212836864
	.fill 256, 4, 3212836864
	.type	__hip_cuid_954f850c98cb7206,@object ; @__hip_cuid_954f850c98cb7206
	.section	.bss,"aw",@nobits
	.globl	__hip_cuid_954f850c98cb7206
__hip_cuid_954f850c98cb7206:
	.byte	0                               ; 0x0
	.size	__hip_cuid_954f850c98cb7206, 1

	.ident	"AMD clang version 19.0.0git (https://github.com/RadeonOpenCompute/llvm-project roc-6.4.0 25133 c7fe45cf4b819c5991fe208aaa96edf142730f1d)"
	.section	".note.GNU-stack","",@progbits
	.addrsig
	.addrsig_sym shared_mem
	.addrsig_sym __hip_cuid_954f850c98cb7206
	.amdgpu_metadata
---
amdhsa.kernels:
  - .agpr_count:     0
    .args:           []
    .group_segment_fixed_size: 0
    .kernarg_segment_align: 4
    .kernarg_segment_size: 0
    .language:       OpenCL C
    .language_version:
      - 2
      - 0
    .max_flat_workgroup_size: 1024
    .name:           _ZN7ck_tileL11flush_cacheEv
    .private_segment_fixed_size: 0
    .sgpr_count:     4
    .sgpr_spill_count: 0
    .symbol:         _ZN7ck_tileL11flush_cacheEv.kd
    .uniform_work_group_size: 1
    .uses_dynamic_stack: false
    .vgpr_count:     0
    .vgpr_spill_count: 0
    .wavefront_size: 64
  - .agpr_count:     0
    .args:
      - .address_space:  global
        .offset:         0
        .size:           8
        .value_kind:     global_buffer
      - .address_space:  global
        .offset:         8
        .size:           8
        .value_kind:     global_buffer
      - .address_space:  global
        .offset:         16
        .size:           8
        .value_kind:     global_buffer
      - .address_space:  global
        .offset:         24
        .size:           8
        .value_kind:     global_buffer
      - .offset:         32
        .size:           8
        .value_kind:     by_value
      - .offset:         40
        .size:           8
        .value_kind:     by_value
      - .offset:         48
        .size:           8
        .value_kind:     by_value
      - .offset:         56
        .size:           8
        .value_kind:     by_value
      - .offset:         64
        .size:           8
        .value_kind:     by_value
      - .offset:         72
        .size:           4
        .value_kind:     by_value
    .group_segment_fixed_size: 0
    .kernarg_segment_align: 8
    .kernarg_segment_size: 76
    .language:       OpenCL C
    .language_version:
      - 2
      - 0
    .max_flat_workgroup_size: 1024
    .name:           _Z21moe_fused_gate_kernelItLi32ELi256ELi8ELi1EEvPvS0_PfPilllldi
    .private_segment_fixed_size: 0
    .sgpr_count:     89
    .sgpr_spill_count: 0
    .symbol:         _Z21moe_fused_gate_kernelItLi32ELi256ELi8ELi1EEvPvS0_PfPilllldi.kd
    .uniform_work_group_size: 1
    .uses_dynamic_stack: false
    .vgpr_count:     82
    .vgpr_spill_count: 0
    .wavefront_size: 64
  - .agpr_count:     0
    .args:
      - .address_space:  global
        .offset:         0
        .size:           8
        .value_kind:     global_buffer
      - .address_space:  global
        .offset:         8
        .size:           8
        .value_kind:     global_buffer
      - .address_space:  global
        .offset:         16
        .size:           8
        .value_kind:     global_buffer
      - .address_space:  global
        .offset:         24
        .size:           8
        .value_kind:     global_buffer
      - .offset:         32
        .size:           8
        .value_kind:     by_value
      - .offset:         40
        .size:           8
        .value_kind:     by_value
      - .offset:         48
        .size:           8
        .value_kind:     by_value
      - .offset:         56
        .size:           8
        .value_kind:     by_value
      - .offset:         64
        .size:           8
        .value_kind:     by_value
      - .offset:         72
        .size:           4
        .value_kind:     by_value
    .group_segment_fixed_size: 0
    .kernarg_segment_align: 8
    .kernarg_segment_size: 76
    .language:       OpenCL C
    .language_version:
      - 2
      - 0
    .max_flat_workgroup_size: 1024
    .name:           _Z21moe_fused_gate_kernelIDF16_Li32ELi256ELi8ELi1EEvPvS0_PfPilllldi
    .private_segment_fixed_size: 0
    .sgpr_count:     89
    .sgpr_spill_count: 0
    .symbol:         _Z21moe_fused_gate_kernelIDF16_Li32ELi256ELi8ELi1EEvPvS0_PfPilllldi.kd
    .uniform_work_group_size: 1
    .uses_dynamic_stack: false
    .vgpr_count:     82
    .vgpr_spill_count: 0
    .wavefront_size: 64
  - .agpr_count:     0
    .args:
      - .address_space:  global
        .offset:         0
        .size:           8
        .value_kind:     global_buffer
      - .address_space:  global
        .offset:         8
        .size:           8
        .value_kind:     global_buffer
      - .address_space:  global
        .offset:         16
        .size:           8
        .value_kind:     global_buffer
      - .address_space:  global
        .offset:         24
        .size:           8
        .value_kind:     global_buffer
      - .offset:         32
        .size:           8
        .value_kind:     by_value
      - .offset:         40
        .size:           8
        .value_kind:     by_value
      - .offset:         48
        .size:           8
        .value_kind:     by_value
      - .offset:         56
        .size:           8
        .value_kind:     by_value
      - .offset:         64
        .size:           8
        .value_kind:     by_value
      - .offset:         72
        .size:           4
        .value_kind:     by_value
    .group_segment_fixed_size: 0
    .kernarg_segment_align: 8
    .kernarg_segment_size: 76
    .language:       OpenCL C
    .language_version:
      - 2
      - 0
    .max_flat_workgroup_size: 1024
    .name:           _Z21moe_fused_gate_kernelIfLi32ELi256ELi8ELi1EEvPvS0_PfPilllldi
    .private_segment_fixed_size: 0
    .sgpr_count:     89
    .sgpr_spill_count: 0
    .symbol:         _Z21moe_fused_gate_kernelIfLi32ELi256ELi8ELi1EEvPvS0_PfPilllldi.kd
    .uniform_work_group_size: 1
    .uses_dynamic_stack: false
    .vgpr_count:     82
    .vgpr_spill_count: 0
    .wavefront_size: 64
  - .agpr_count:     0
    .args:
      - .address_space:  global
        .offset:         0
        .size:           8
        .value_kind:     global_buffer
      - .address_space:  global
        .offset:         8
        .size:           8
        .value_kind:     global_buffer
      - .address_space:  global
        .offset:         16
        .size:           8
        .value_kind:     global_buffer
      - .address_space:  global
        .offset:         24
        .size:           8
        .value_kind:     global_buffer
      - .offset:         32
        .size:           8
        .value_kind:     by_value
      - .offset:         40
        .size:           8
        .value_kind:     by_value
      - .offset:         48
        .size:           8
        .value_kind:     by_value
      - .offset:         56
        .size:           8
        .value_kind:     by_value
      - .offset:         64
        .size:           8
        .value_kind:     by_value
      - .offset:         72
        .size:           4
        .value_kind:     by_value
    .group_segment_fixed_size: 0
    .kernarg_segment_align: 8
    .kernarg_segment_size: 76
    .language:       OpenCL C
    .language_version:
      - 2
      - 0
    .max_flat_workgroup_size: 1024
    .name:           _Z21moe_fused_gate_kernelItLi16ELi256ELi16ELi1EEvPvS0_PfPilllldi
    .private_segment_fixed_size: 0
    .sgpr_count:     57
    .sgpr_spill_count: 0
    .symbol:         _Z21moe_fused_gate_kernelItLi16ELi256ELi16ELi1EEvPvS0_PfPilllldi.kd
    .uniform_work_group_size: 1
    .uses_dynamic_stack: false
    .vgpr_count:     50
    .vgpr_spill_count: 0
    .wavefront_size: 64
  - .agpr_count:     0
    .args:
      - .address_space:  global
        .offset:         0
        .size:           8
        .value_kind:     global_buffer
      - .address_space:  global
        .offset:         8
        .size:           8
        .value_kind:     global_buffer
      - .address_space:  global
        .offset:         16
        .size:           8
        .value_kind:     global_buffer
      - .address_space:  global
        .offset:         24
        .size:           8
        .value_kind:     global_buffer
      - .offset:         32
        .size:           8
        .value_kind:     by_value
      - .offset:         40
        .size:           8
        .value_kind:     by_value
      - .offset:         48
        .size:           8
        .value_kind:     by_value
      - .offset:         56
        .size:           8
        .value_kind:     by_value
      - .offset:         64
        .size:           8
        .value_kind:     by_value
      - .offset:         72
        .size:           4
        .value_kind:     by_value
    .group_segment_fixed_size: 0
    .kernarg_segment_align: 8
    .kernarg_segment_size: 76
    .language:       OpenCL C
    .language_version:
      - 2
      - 0
    .max_flat_workgroup_size: 1024
    .name:           _Z21moe_fused_gate_kernelIDF16_Li16ELi256ELi16ELi1EEvPvS0_PfPilllldi
    .private_segment_fixed_size: 0
    .sgpr_count:     57
    .sgpr_spill_count: 0
    .symbol:         _Z21moe_fused_gate_kernelIDF16_Li16ELi256ELi16ELi1EEvPvS0_PfPilllldi.kd
    .uniform_work_group_size: 1
    .uses_dynamic_stack: false
    .vgpr_count:     50
    .vgpr_spill_count: 0
    .wavefront_size: 64
  - .agpr_count:     0
    .args:
      - .address_space:  global
        .offset:         0
        .size:           8
        .value_kind:     global_buffer
      - .address_space:  global
        .offset:         8
        .size:           8
        .value_kind:     global_buffer
      - .address_space:  global
        .offset:         16
        .size:           8
        .value_kind:     global_buffer
      - .address_space:  global
        .offset:         24
        .size:           8
        .value_kind:     global_buffer
      - .offset:         32
        .size:           8
        .value_kind:     by_value
      - .offset:         40
        .size:           8
        .value_kind:     by_value
      - .offset:         48
        .size:           8
        .value_kind:     by_value
      - .offset:         56
        .size:           8
        .value_kind:     by_value
      - .offset:         64
        .size:           8
        .value_kind:     by_value
      - .offset:         72
        .size:           4
        .value_kind:     by_value
    .group_segment_fixed_size: 0
    .kernarg_segment_align: 8
    .kernarg_segment_size: 76
    .language:       OpenCL C
    .language_version:
      - 2
      - 0
    .max_flat_workgroup_size: 1024
    .name:           _Z21moe_fused_gate_kernelIfLi16ELi256ELi16ELi1EEvPvS0_PfPilllldi
    .private_segment_fixed_size: 0
    .sgpr_count:     57
    .sgpr_spill_count: 0
    .symbol:         _Z21moe_fused_gate_kernelIfLi16ELi256ELi16ELi1EEvPvS0_PfPilllldi.kd
    .uniform_work_group_size: 1
    .uses_dynamic_stack: false
    .vgpr_count:     50
    .vgpr_spill_count: 0
    .wavefront_size: 64
  - .agpr_count:     0
    .args:
      - .address_space:  global
        .offset:         0
        .size:           8
        .value_kind:     global_buffer
      - .address_space:  global
        .offset:         8
        .size:           8
        .value_kind:     global_buffer
      - .address_space:  global
        .offset:         16
        .size:           8
        .value_kind:     global_buffer
      - .address_space:  global
        .offset:         24
        .size:           8
        .value_kind:     global_buffer
      - .offset:         32
        .size:           8
        .value_kind:     by_value
      - .offset:         40
        .size:           8
        .value_kind:     by_value
      - .offset:         48
        .size:           8
        .value_kind:     by_value
      - .offset:         56
        .size:           8
        .value_kind:     by_value
      - .offset:         64
        .size:           8
        .value_kind:     by_value
      - .offset:         72
        .size:           4
        .value_kind:     by_value
    .group_segment_fixed_size: 0
    .kernarg_segment_align: 8
    .kernarg_segment_size: 76
    .language:       OpenCL C
    .language_version:
      - 2
      - 0
    .max_flat_workgroup_size: 1024
    .name:           _Z21moe_fused_gate_kernelItLi24ELi192ELi8ELi1EEvPvS0_PfPilllldi
    .private_segment_fixed_size: 0
    .sgpr_count:     74
    .sgpr_spill_count: 0
    .symbol:         _Z21moe_fused_gate_kernelItLi24ELi192ELi8ELi1EEvPvS0_PfPilllldi.kd
    .uniform_work_group_size: 1
    .uses_dynamic_stack: false
    .vgpr_count:     81
    .vgpr_spill_count: 0
    .wavefront_size: 64
  - .agpr_count:     0
    .args:
      - .address_space:  global
        .offset:         0
        .size:           8
        .value_kind:     global_buffer
      - .address_space:  global
        .offset:         8
        .size:           8
        .value_kind:     global_buffer
      - .address_space:  global
        .offset:         16
        .size:           8
        .value_kind:     global_buffer
      - .address_space:  global
        .offset:         24
        .size:           8
        .value_kind:     global_buffer
      - .offset:         32
        .size:           8
        .value_kind:     by_value
      - .offset:         40
        .size:           8
        .value_kind:     by_value
      - .offset:         48
        .size:           8
        .value_kind:     by_value
      - .offset:         56
        .size:           8
        .value_kind:     by_value
      - .offset:         64
        .size:           8
        .value_kind:     by_value
      - .offset:         72
        .size:           4
        .value_kind:     by_value
    .group_segment_fixed_size: 0
    .kernarg_segment_align: 8
    .kernarg_segment_size: 76
    .language:       OpenCL C
    .language_version:
      - 2
      - 0
    .max_flat_workgroup_size: 1024
    .name:           _Z21moe_fused_gate_kernelIDF16_Li24ELi192ELi8ELi1EEvPvS0_PfPilllldi
    .private_segment_fixed_size: 0
    .sgpr_count:     74
    .sgpr_spill_count: 0
    .symbol:         _Z21moe_fused_gate_kernelIDF16_Li24ELi192ELi8ELi1EEvPvS0_PfPilllldi.kd
    .uniform_work_group_size: 1
    .uses_dynamic_stack: false
    .vgpr_count:     81
    .vgpr_spill_count: 0
    .wavefront_size: 64
  - .agpr_count:     0
    .args:
      - .address_space:  global
        .offset:         0
        .size:           8
        .value_kind:     global_buffer
      - .address_space:  global
        .offset:         8
        .size:           8
        .value_kind:     global_buffer
      - .address_space:  global
        .offset:         16
        .size:           8
        .value_kind:     global_buffer
      - .address_space:  global
        .offset:         24
        .size:           8
        .value_kind:     global_buffer
      - .offset:         32
        .size:           8
        .value_kind:     by_value
      - .offset:         40
        .size:           8
        .value_kind:     by_value
      - .offset:         48
        .size:           8
        .value_kind:     by_value
      - .offset:         56
        .size:           8
        .value_kind:     by_value
      - .offset:         64
        .size:           8
        .value_kind:     by_value
      - .offset:         72
        .size:           4
        .value_kind:     by_value
    .group_segment_fixed_size: 0
    .kernarg_segment_align: 8
    .kernarg_segment_size: 76
    .language:       OpenCL C
    .language_version:
      - 2
      - 0
    .max_flat_workgroup_size: 1024
    .name:           _Z21moe_fused_gate_kernelIfLi24ELi192ELi8ELi1EEvPvS0_PfPilllldi
    .private_segment_fixed_size: 0
    .sgpr_count:     74
    .sgpr_spill_count: 0
    .symbol:         _Z21moe_fused_gate_kernelIfLi24ELi192ELi8ELi1EEvPvS0_PfPilllldi.kd
    .uniform_work_group_size: 1
    .uses_dynamic_stack: false
    .vgpr_count:     81
    .vgpr_spill_count: 0
    .wavefront_size: 64
  - .agpr_count:     0
    .args:
      - .address_space:  global
        .offset:         0
        .size:           8
        .value_kind:     global_buffer
      - .address_space:  global
        .offset:         8
        .size:           8
        .value_kind:     global_buffer
      - .address_space:  global
        .offset:         16
        .size:           8
        .value_kind:     global_buffer
      - .address_space:  global
        .offset:         24
        .size:           8
        .value_kind:     global_buffer
      - .offset:         32
        .size:           8
        .value_kind:     by_value
      - .offset:         40
        .size:           8
        .value_kind:     by_value
      - .offset:         48
        .size:           8
        .value_kind:     by_value
      - .offset:         56
        .size:           8
        .value_kind:     by_value
      - .offset:         64
        .size:           8
        .value_kind:     by_value
      - .offset:         72
        .size:           4
        .value_kind:     by_value
    .group_segment_fixed_size: 0
    .kernarg_segment_align: 8
    .kernarg_segment_size: 76
    .language:       OpenCL C
    .language_version:
      - 2
      - 0
    .max_flat_workgroup_size: 1024
    .name:           _Z21moe_fused_gate_kernelItLi32ELi128ELi4ELi1EEvPvS0_PfPilllldi
    .private_segment_fixed_size: 0
    .sgpr_count:     89
    .sgpr_spill_count: 0
    .symbol:         _Z21moe_fused_gate_kernelItLi32ELi128ELi4ELi1EEvPvS0_PfPilllldi.kd
    .uniform_work_group_size: 1
    .uses_dynamic_stack: false
    .vgpr_count:     82
    .vgpr_spill_count: 0
    .wavefront_size: 64
  - .agpr_count:     0
    .args:
      - .address_space:  global
        .offset:         0
        .size:           8
        .value_kind:     global_buffer
      - .address_space:  global
        .offset:         8
        .size:           8
        .value_kind:     global_buffer
      - .address_space:  global
        .offset:         16
        .size:           8
        .value_kind:     global_buffer
      - .address_space:  global
        .offset:         24
        .size:           8
        .value_kind:     global_buffer
      - .offset:         32
        .size:           8
        .value_kind:     by_value
      - .offset:         40
        .size:           8
        .value_kind:     by_value
      - .offset:         48
        .size:           8
        .value_kind:     by_value
      - .offset:         56
        .size:           8
        .value_kind:     by_value
      - .offset:         64
        .size:           8
        .value_kind:     by_value
      - .offset:         72
        .size:           4
        .value_kind:     by_value
    .group_segment_fixed_size: 0
    .kernarg_segment_align: 8
    .kernarg_segment_size: 76
    .language:       OpenCL C
    .language_version:
      - 2
      - 0
    .max_flat_workgroup_size: 1024
    .name:           _Z21moe_fused_gate_kernelIDF16_Li32ELi128ELi4ELi1EEvPvS0_PfPilllldi
    .private_segment_fixed_size: 0
    .sgpr_count:     89
    .sgpr_spill_count: 0
    .symbol:         _Z21moe_fused_gate_kernelIDF16_Li32ELi128ELi4ELi1EEvPvS0_PfPilllldi.kd
    .uniform_work_group_size: 1
    .uses_dynamic_stack: false
    .vgpr_count:     82
    .vgpr_spill_count: 0
    .wavefront_size: 64
  - .agpr_count:     0
    .args:
      - .address_space:  global
        .offset:         0
        .size:           8
        .value_kind:     global_buffer
      - .address_space:  global
        .offset:         8
        .size:           8
        .value_kind:     global_buffer
      - .address_space:  global
        .offset:         16
        .size:           8
        .value_kind:     global_buffer
      - .address_space:  global
        .offset:         24
        .size:           8
        .value_kind:     global_buffer
      - .offset:         32
        .size:           8
        .value_kind:     by_value
      - .offset:         40
        .size:           8
        .value_kind:     by_value
      - .offset:         48
        .size:           8
        .value_kind:     by_value
      - .offset:         56
        .size:           8
        .value_kind:     by_value
      - .offset:         64
        .size:           8
        .value_kind:     by_value
      - .offset:         72
        .size:           4
        .value_kind:     by_value
    .group_segment_fixed_size: 0
    .kernarg_segment_align: 8
    .kernarg_segment_size: 76
    .language:       OpenCL C
    .language_version:
      - 2
      - 0
    .max_flat_workgroup_size: 1024
    .name:           _Z21moe_fused_gate_kernelIfLi32ELi128ELi4ELi1EEvPvS0_PfPilllldi
    .private_segment_fixed_size: 0
    .sgpr_count:     89
    .sgpr_spill_count: 0
    .symbol:         _Z21moe_fused_gate_kernelIfLi32ELi128ELi4ELi1EEvPvS0_PfPilllldi.kd
    .uniform_work_group_size: 1
    .uses_dynamic_stack: false
    .vgpr_count:     82
    .vgpr_spill_count: 0
    .wavefront_size: 64
  - .agpr_count:     0
    .args:
      - .address_space:  global
        .offset:         0
        .size:           8
        .value_kind:     global_buffer
      - .address_space:  global
        .offset:         8
        .size:           8
        .value_kind:     global_buffer
      - .address_space:  global
        .offset:         16
        .size:           8
        .value_kind:     global_buffer
      - .address_space:  global
        .offset:         24
        .size:           8
        .value_kind:     global_buffer
      - .offset:         32
        .size:           8
        .value_kind:     by_value
      - .offset:         40
        .size:           8
        .value_kind:     by_value
      - .offset:         48
        .size:           8
        .value_kind:     by_value
      - .offset:         56
        .size:           8
        .value_kind:     by_value
      - .offset:         64
        .size:           8
        .value_kind:     by_value
      - .offset:         72
        .size:           4
        .value_kind:     by_value
    .group_segment_fixed_size: 0
    .kernarg_segment_align: 8
    .kernarg_segment_size: 76
    .language:       OpenCL C
    .language_version:
      - 2
      - 0
    .max_flat_workgroup_size: 1024
    .name:           _Z21moe_fused_gate_kernelItLi16ELi128ELi8ELi1EEvPvS0_PfPilllldi
    .private_segment_fixed_size: 0
    .sgpr_count:     57
    .sgpr_spill_count: 0
    .symbol:         _Z21moe_fused_gate_kernelItLi16ELi128ELi8ELi1EEvPvS0_PfPilllldi.kd
    .uniform_work_group_size: 1
    .uses_dynamic_stack: false
    .vgpr_count:     50
    .vgpr_spill_count: 0
    .wavefront_size: 64
  - .agpr_count:     0
    .args:
      - .address_space:  global
        .offset:         0
        .size:           8
        .value_kind:     global_buffer
      - .address_space:  global
        .offset:         8
        .size:           8
        .value_kind:     global_buffer
      - .address_space:  global
        .offset:         16
        .size:           8
        .value_kind:     global_buffer
      - .address_space:  global
        .offset:         24
        .size:           8
        .value_kind:     global_buffer
      - .offset:         32
        .size:           8
        .value_kind:     by_value
      - .offset:         40
        .size:           8
        .value_kind:     by_value
      - .offset:         48
        .size:           8
        .value_kind:     by_value
      - .offset:         56
        .size:           8
        .value_kind:     by_value
      - .offset:         64
        .size:           8
        .value_kind:     by_value
      - .offset:         72
        .size:           4
        .value_kind:     by_value
    .group_segment_fixed_size: 0
    .kernarg_segment_align: 8
    .kernarg_segment_size: 76
    .language:       OpenCL C
    .language_version:
      - 2
      - 0
    .max_flat_workgroup_size: 1024
    .name:           _Z21moe_fused_gate_kernelIDF16_Li16ELi128ELi8ELi1EEvPvS0_PfPilllldi
    .private_segment_fixed_size: 0
    .sgpr_count:     57
    .sgpr_spill_count: 0
    .symbol:         _Z21moe_fused_gate_kernelIDF16_Li16ELi128ELi8ELi1EEvPvS0_PfPilllldi.kd
    .uniform_work_group_size: 1
    .uses_dynamic_stack: false
    .vgpr_count:     50
    .vgpr_spill_count: 0
    .wavefront_size: 64
  - .agpr_count:     0
    .args:
      - .address_space:  global
        .offset:         0
        .size:           8
        .value_kind:     global_buffer
      - .address_space:  global
        .offset:         8
        .size:           8
        .value_kind:     global_buffer
      - .address_space:  global
        .offset:         16
        .size:           8
        .value_kind:     global_buffer
      - .address_space:  global
        .offset:         24
        .size:           8
        .value_kind:     global_buffer
      - .offset:         32
        .size:           8
        .value_kind:     by_value
      - .offset:         40
        .size:           8
        .value_kind:     by_value
      - .offset:         48
        .size:           8
        .value_kind:     by_value
      - .offset:         56
        .size:           8
        .value_kind:     by_value
      - .offset:         64
        .size:           8
        .value_kind:     by_value
      - .offset:         72
        .size:           4
        .value_kind:     by_value
    .group_segment_fixed_size: 0
    .kernarg_segment_align: 8
    .kernarg_segment_size: 76
    .language:       OpenCL C
    .language_version:
      - 2
      - 0
    .max_flat_workgroup_size: 1024
    .name:           _Z21moe_fused_gate_kernelIfLi16ELi128ELi8ELi1EEvPvS0_PfPilllldi
    .private_segment_fixed_size: 0
    .sgpr_count:     57
    .sgpr_spill_count: 0
    .symbol:         _Z21moe_fused_gate_kernelIfLi16ELi128ELi8ELi1EEvPvS0_PfPilllldi.kd
    .uniform_work_group_size: 1
    .uses_dynamic_stack: false
    .vgpr_count:     50
    .vgpr_spill_count: 0
    .wavefront_size: 64
  - .agpr_count:     0
    .args:
      - .address_space:  global
        .offset:         0
        .size:           8
        .value_kind:     global_buffer
      - .address_space:  global
        .offset:         8
        .size:           8
        .value_kind:     global_buffer
      - .address_space:  global
        .offset:         16
        .size:           8
        .value_kind:     global_buffer
      - .address_space:  global
        .offset:         24
        .size:           8
        .value_kind:     global_buffer
      - .offset:         32
        .size:           8
        .value_kind:     by_value
      - .offset:         40
        .size:           8
        .value_kind:     by_value
      - .offset:         48
        .size:           8
        .value_kind:     by_value
      - .offset:         56
        .size:           8
        .value_kind:     by_value
      - .offset:         64
        .size:           8
        .value_kind:     by_value
      - .offset:         72
        .size:           4
        .value_kind:     by_value
    .group_segment_fixed_size: 0
    .kernarg_segment_align: 8
    .kernarg_segment_size: 76
    .language:       OpenCL C
    .language_version:
      - 2
      - 0
    .max_flat_workgroup_size: 1024
    .name:           _Z21moe_fused_gate_kernelItLi12ELi96ELi8ELi1EEvPvS0_PfPilllldi
    .private_segment_fixed_size: 0
    .sgpr_count:     56
    .sgpr_spill_count: 0
    .symbol:         _Z21moe_fused_gate_kernelItLi12ELi96ELi8ELi1EEvPvS0_PfPilllldi.kd
    .uniform_work_group_size: 1
    .uses_dynamic_stack: false
    .vgpr_count:     49
    .vgpr_spill_count: 0
    .wavefront_size: 64
  - .agpr_count:     0
    .args:
      - .address_space:  global
        .offset:         0
        .size:           8
        .value_kind:     global_buffer
      - .address_space:  global
        .offset:         8
        .size:           8
        .value_kind:     global_buffer
      - .address_space:  global
        .offset:         16
        .size:           8
        .value_kind:     global_buffer
      - .address_space:  global
        .offset:         24
        .size:           8
        .value_kind:     global_buffer
      - .offset:         32
        .size:           8
        .value_kind:     by_value
      - .offset:         40
        .size:           8
        .value_kind:     by_value
      - .offset:         48
        .size:           8
        .value_kind:     by_value
      - .offset:         56
        .size:           8
        .value_kind:     by_value
      - .offset:         64
        .size:           8
        .value_kind:     by_value
      - .offset:         72
        .size:           4
        .value_kind:     by_value
    .group_segment_fixed_size: 0
    .kernarg_segment_align: 8
    .kernarg_segment_size: 76
    .language:       OpenCL C
    .language_version:
      - 2
      - 0
    .max_flat_workgroup_size: 1024
    .name:           _Z21moe_fused_gate_kernelIDF16_Li12ELi96ELi8ELi1EEvPvS0_PfPilllldi
    .private_segment_fixed_size: 0
    .sgpr_count:     56
    .sgpr_spill_count: 0
    .symbol:         _Z21moe_fused_gate_kernelIDF16_Li12ELi96ELi8ELi1EEvPvS0_PfPilllldi.kd
    .uniform_work_group_size: 1
    .uses_dynamic_stack: false
    .vgpr_count:     49
    .vgpr_spill_count: 0
    .wavefront_size: 64
  - .agpr_count:     0
    .args:
      - .address_space:  global
        .offset:         0
        .size:           8
        .value_kind:     global_buffer
      - .address_space:  global
        .offset:         8
        .size:           8
        .value_kind:     global_buffer
      - .address_space:  global
        .offset:         16
        .size:           8
        .value_kind:     global_buffer
      - .address_space:  global
        .offset:         24
        .size:           8
        .value_kind:     global_buffer
      - .offset:         32
        .size:           8
        .value_kind:     by_value
      - .offset:         40
        .size:           8
        .value_kind:     by_value
      - .offset:         48
        .size:           8
        .value_kind:     by_value
      - .offset:         56
        .size:           8
        .value_kind:     by_value
      - .offset:         64
        .size:           8
        .value_kind:     by_value
      - .offset:         72
        .size:           4
        .value_kind:     by_value
    .group_segment_fixed_size: 0
    .kernarg_segment_align: 8
    .kernarg_segment_size: 76
    .language:       OpenCL C
    .language_version:
      - 2
      - 0
    .max_flat_workgroup_size: 1024
    .name:           _Z21moe_fused_gate_kernelIfLi12ELi96ELi8ELi1EEvPvS0_PfPilllldi
    .private_segment_fixed_size: 0
    .sgpr_count:     56
    .sgpr_spill_count: 0
    .symbol:         _Z21moe_fused_gate_kernelIfLi12ELi96ELi8ELi1EEvPvS0_PfPilllldi.kd
    .uniform_work_group_size: 1
    .uses_dynamic_stack: false
    .vgpr_count:     49
    .vgpr_spill_count: 0
    .wavefront_size: 64
  - .agpr_count:     0
    .args:
      - .address_space:  global
        .offset:         0
        .size:           8
        .value_kind:     global_buffer
      - .address_space:  global
        .offset:         8
        .size:           8
        .value_kind:     global_buffer
      - .address_space:  global
        .offset:         16
        .size:           8
        .value_kind:     global_buffer
      - .address_space:  global
        .offset:         24
        .size:           8
        .value_kind:     global_buffer
      - .offset:         32
        .size:           8
        .value_kind:     by_value
      - .offset:         40
        .size:           8
        .value_kind:     by_value
      - .offset:         48
        .size:           8
        .value_kind:     by_value
      - .offset:         56
        .size:           8
        .value_kind:     by_value
      - .offset:         64
        .size:           8
        .value_kind:     by_value
      - .offset:         72
        .size:           8
        .value_kind:     by_value
      - .offset:         80
        .size:           8
        .value_kind:     by_value
      - .offset:         88
        .size:           4
        .value_kind:     by_value
    .group_segment_fixed_size: 0
    .kernarg_segment_align: 8
    .kernarg_segment_size: 92
    .language:       OpenCL C
    .language_version:
      - 2
      - 0
    .max_flat_workgroup_size: 1024
    .name:           _Z29moe_fused_gate_kernel_dynamicItEvPvS0_PfPilllllldi
    .private_segment_fixed_size: 272
    .sgpr_count:     55
    .sgpr_spill_count: 0
    .symbol:         _Z29moe_fused_gate_kernel_dynamicItEvPvS0_PfPilllllldi.kd
    .uniform_work_group_size: 1
    .uses_dynamic_stack: false
    .vgpr_count:     40
    .vgpr_spill_count: 0
    .wavefront_size: 64
  - .agpr_count:     0
    .args:
      - .address_space:  global
        .offset:         0
        .size:           8
        .value_kind:     global_buffer
      - .address_space:  global
        .offset:         8
        .size:           8
        .value_kind:     global_buffer
      - .address_space:  global
        .offset:         16
        .size:           8
        .value_kind:     global_buffer
      - .address_space:  global
        .offset:         24
        .size:           8
        .value_kind:     global_buffer
      - .offset:         32
        .size:           8
        .value_kind:     by_value
      - .offset:         40
        .size:           8
        .value_kind:     by_value
      - .offset:         48
        .size:           8
        .value_kind:     by_value
      - .offset:         56
        .size:           8
        .value_kind:     by_value
      - .offset:         64
        .size:           8
        .value_kind:     by_value
      - .offset:         72
        .size:           8
        .value_kind:     by_value
      - .offset:         80
        .size:           8
        .value_kind:     by_value
      - .offset:         88
        .size:           4
        .value_kind:     by_value
    .group_segment_fixed_size: 0
    .kernarg_segment_align: 8
    .kernarg_segment_size: 92
    .language:       OpenCL C
    .language_version:
      - 2
      - 0
    .max_flat_workgroup_size: 1024
    .name:           _Z29moe_fused_gate_kernel_dynamicIDF16_EvPvS0_PfPilllllldi
    .private_segment_fixed_size: 272
    .sgpr_count:     55
    .sgpr_spill_count: 0
    .symbol:         _Z29moe_fused_gate_kernel_dynamicIDF16_EvPvS0_PfPilllllldi.kd
    .uniform_work_group_size: 1
    .uses_dynamic_stack: false
    .vgpr_count:     40
    .vgpr_spill_count: 0
    .wavefront_size: 64
  - .agpr_count:     0
    .args:
      - .address_space:  global
        .offset:         0
        .size:           8
        .value_kind:     global_buffer
      - .address_space:  global
        .offset:         8
        .size:           8
        .value_kind:     global_buffer
      - .address_space:  global
        .offset:         16
        .size:           8
        .value_kind:     global_buffer
      - .address_space:  global
        .offset:         24
        .size:           8
        .value_kind:     global_buffer
      - .offset:         32
        .size:           8
        .value_kind:     by_value
      - .offset:         40
        .size:           8
        .value_kind:     by_value
      - .offset:         48
        .size:           8
        .value_kind:     by_value
      - .offset:         56
        .size:           8
        .value_kind:     by_value
      - .offset:         64
        .size:           8
        .value_kind:     by_value
      - .offset:         72
        .size:           8
        .value_kind:     by_value
      - .offset:         80
        .size:           8
        .value_kind:     by_value
      - .offset:         88
        .size:           4
        .value_kind:     by_value
    .group_segment_fixed_size: 0
    .kernarg_segment_align: 8
    .kernarg_segment_size: 92
    .language:       OpenCL C
    .language_version:
      - 2
      - 0
    .max_flat_workgroup_size: 1024
    .name:           _Z29moe_fused_gate_kernel_dynamicIfEvPvS0_PfPilllllldi
    .private_segment_fixed_size: 272
    .sgpr_count:     55
    .sgpr_spill_count: 0
    .symbol:         _Z29moe_fused_gate_kernel_dynamicIfEvPvS0_PfPilllllldi.kd
    .uniform_work_group_size: 1
    .uses_dynamic_stack: false
    .vgpr_count:     40
    .vgpr_spill_count: 0
    .wavefront_size: 64
amdhsa.target:   amdgcn-amd-amdhsa--gfx90a
amdhsa.version:
  - 1
  - 2
...

	.end_amdgpu_metadata
